;; amdgpu-corpus repo=ROCm/rocFFT kind=compiled arch=gfx950 opt=O3
	.text
	.amdgcn_target "amdgcn-amd-amdhsa--gfx950"
	.amdhsa_code_object_version 6
	.protected	bluestein_single_fwd_len6144_dim1_sp_op_CI_CI ; -- Begin function bluestein_single_fwd_len6144_dim1_sp_op_CI_CI
	.globl	bluestein_single_fwd_len6144_dim1_sp_op_CI_CI
	.p2align	8
	.type	bluestein_single_fwd_len6144_dim1_sp_op_CI_CI,@function
bluestein_single_fwd_len6144_dim1_sp_op_CI_CI: ; @bluestein_single_fwd_len6144_dim1_sp_op_CI_CI
; %bb.0:
	s_load_dwordx4 s[8:11], s[0:1], 0x28
	s_mov_b32 s3, 0
	s_waitcnt lgkmcnt(0)
	v_mov_b32_e32 v2, s8
	v_mov_b32_e32 v3, s9
	v_cmp_lt_u64_e32 vcc, s[2:3], v[2:3]
	s_and_saveexec_b64 s[4:5], vcc
	s_cbranch_execz .LBB0_29
; %bb.1:
	s_load_dwordx2 s[16:17], s[0:1], 0x0
	s_load_dwordx2 s[18:19], s[0:1], 0x38
	v_mov_b64_e32 v[68:69], s[2:3]
	s_movk_i32 s2, 0x17f
	s_movk_i32 s4, 0x180
	v_mov_b32_e32 v67, 0
	v_cmp_lt_u32_e64 s[2:3], s2, v0
	v_cmp_gt_u32_e64 s[8:9], s4, v0
	v_lshlrev_b32_e32 v66, 3, v0
	s_and_saveexec_b64 s[12:13], s[8:9]
	s_cbranch_execz .LBB0_3
; %bb.2:
	s_load_dwordx2 s[4:5], s[0:1], 0x18
	v_mov_b32_e32 v2, s10
	v_mov_b32_e32 v3, s11
	;; [unrolled: 1-line block ×3, first 2 shown]
	v_or_b32_e32 v36, 0x3000, v66
	s_waitcnt lgkmcnt(0)
	s_load_dwordx4 s[4:7], s[4:5], 0x0
	v_or_b32_e32 v52, 0x6000, v66
	s_waitcnt lgkmcnt(0)
	v_mad_u64_u32 v[4:5], s[10:11], s6, v68, 0
	v_mad_u64_u32 v[6:7], s[10:11], s4, v0, 0
	v_mov_b32_e32 v8, v5
	v_mov_b32_e32 v10, v7
	v_mad_u64_u32 v[8:9], s[6:7], s7, v68, v[8:9]
	v_mov_b32_e32 v5, v8
	v_mad_u64_u32 v[8:9], s[6:7], s5, v0, v[10:11]
	v_mov_b32_e32 v7, v8
	v_lshl_add_u64 v[2:3], v[4:5], 3, v[2:3]
	v_lshl_add_u64 v[6:7], v[6:7], 3, v[2:3]
	v_mad_u64_u32 v[10:11], s[6:7], s4, v1, v[6:7]
	s_mulk_i32 s5, 0xc00
	v_add_u32_e32 v11, s5, v11
	v_mad_u64_u32 v[12:13], s[6:7], s4, v1, v[10:11]
	v_lshl_add_u64 v[4:5], s[16:17], 0, v[66:67]
	v_add_u32_e32 v13, s5, v13
	s_movk_i32 s6, 0x1000
	v_add_co_u32_e32 v14, vcc, s6, v4
	v_mad_u64_u32 v[16:17], s[6:7], s4, v1, v[12:13]
	s_nop 0
	v_addc_co_u32_e32 v15, vcc, 0, v5, vcc
	v_add_u32_e32 v17, s5, v17
	s_movk_i32 s6, 0x2000
	v_add_co_u32_e32 v18, vcc, s6, v4
	v_mad_u64_u32 v[20:21], s[6:7], s4, v1, v[16:17]
	v_add_u32_e32 v21, s5, v21
	global_load_dwordx2 v[2:3], v[6:7], off
	s_nop 0
	global_load_dwordx2 v[6:7], v66, s[16:17]
	global_load_dwordx2 v[8:9], v66, s[16:17] offset:3072
	global_load_dwordx2 v[22:23], v[10:11], off
	global_load_dwordx2 v[24:25], v[12:13], off
	global_load_dwordx2 v[26:27], v[16:17], off
	global_load_dwordx2 v[28:29], v[20:21], off
	v_mad_u64_u32 v[10:11], s[6:7], s4, v1, v[20:21]
	v_addc_co_u32_e32 v19, vcc, 0, v5, vcc
	s_movk_i32 s10, 0x3000
	v_add_u32_e32 v11, s5, v11
	global_load_dwordx2 v[12:13], v[10:11], off
	v_add_co_u32_e32 v16, vcc, s10, v4
	v_mad_u64_u32 v[10:11], s[6:7], s4, v1, v[10:11]
	s_nop 0
	v_addc_co_u32_e32 v17, vcc, 0, v5, vcc
	v_add_u32_e32 v11, s5, v11
	s_movk_i32 s6, 0x4000
	global_load_dwordx2 v[20:21], v[14:15], off offset:2048
	global_load_dwordx2 v[30:31], v[18:19], off offset:1024
	global_load_dwordx2 v[32:33], v36, s[16:17]
	global_load_dwordx2 v[34:35], v[16:17], off offset:3072
	v_add_co_u32_e32 v16, vcc, s6, v4
	global_load_dwordx2 v[14:15], v[10:11], off
	v_mad_u64_u32 v[10:11], s[6:7], s4, v1, v[10:11]
	v_addc_co_u32_e32 v17, vcc, 0, v5, vcc
	v_add_u32_e32 v11, s5, v11
	s_movk_i32 s6, 0x5000
	global_load_dwordx2 v[18:19], v[10:11], off
	v_add_co_u32_e32 v36, vcc, s6, v4
	v_mad_u64_u32 v[10:11], s[6:7], s4, v1, v[10:11]
	v_add_u32_e32 v11, s5, v11
	global_load_dwordx2 v[38:39], v[10:11], off
	v_mad_u64_u32 v[10:11], s[6:7], s4, v1, v[10:11]
	v_addc_co_u32_e32 v37, vcc, 0, v5, vcc
	s_movk_i32 s10, 0x6000
	v_add_u32_e32 v11, s5, v11
	global_load_dwordx2 v[40:41], v[10:11], off
	v_add_co_u32_e32 v42, vcc, s10, v4
	v_mad_u64_u32 v[10:11], s[6:7], s4, v1, v[10:11]
	s_nop 0
	v_addc_co_u32_e32 v43, vcc, 0, v5, vcc
	v_add_u32_e32 v11, s5, v11
	s_movk_i32 s6, 0x7000
	global_load_dwordx2 v[44:45], v[16:17], off offset:2048
	global_load_dwordx2 v[46:47], v[36:37], off offset:1024
	global_load_dwordx2 v[48:49], v52, s[16:17]
	global_load_dwordx2 v[50:51], v[42:43], off offset:3072
	v_add_co_u32_e32 v36, vcc, s6, v4
	global_load_dwordx2 v[16:17], v[10:11], off
	v_mad_u64_u32 v[10:11], s[6:7], s4, v1, v[10:11]
	v_addc_co_u32_e32 v37, vcc, 0, v5, vcc
	v_add_u32_e32 v11, s5, v11
	s_mov_b32 s6, 0x8000
	global_load_dwordx2 v[42:43], v[10:11], off
	v_add_co_u32_e32 v52, vcc, s6, v4
	v_mad_u64_u32 v[10:11], s[6:7], s4, v1, v[10:11]
	v_add_u32_e32 v11, s5, v11
	global_load_dwordx2 v[54:55], v[10:11], off
	v_mad_u64_u32 v[10:11], s[6:7], s4, v1, v[10:11]
	v_addc_co_u32_e32 v53, vcc, 0, v5, vcc
	s_mov_b32 s10, 0x9000
	v_add_u32_e32 v11, s5, v11
	global_load_dwordx2 v[56:57], v[10:11], off
	v_add_co_u32_e32 v58, vcc, s10, v4
	v_mad_u64_u32 v[10:11], s[6:7], s4, v1, v[10:11]
	s_nop 0
	v_addc_co_u32_e32 v59, vcc, 0, v5, vcc
	s_mov_b32 s6, 0xa000
	v_or_b32_e32 v67, 0x9000, v66
	global_load_dwordx2 v[60:61], v[36:37], off offset:2048
	global_load_dwordx2 v[62:63], v[52:53], off offset:1024
	global_load_dwordx2 v[64:65], v67, s[16:17]
	global_load_dwordx2 v[70:71], v[58:59], off offset:3072
	v_add_co_u32_e32 v52, vcc, s6, v4
	v_add_u32_e32 v11, s5, v11
	s_nop 0
	v_addc_co_u32_e32 v53, vcc, 0, v5, vcc
	global_load_dwordx2 v[36:37], v[10:11], off
	v_mad_u64_u32 v[10:11], s[6:7], s4, v1, v[10:11]
	v_add_co_u32_e32 v4, vcc, 0xb000, v4
	global_load_dwordx2 v[52:53], v[52:53], off offset:2048
	v_add_u32_e32 v11, s5, v11
	v_addc_co_u32_e32 v5, vcc, 0, v5, vcc
	global_load_dwordx2 v[10:11], v[10:11], off
	s_waitcnt vmcnt(29)
	v_mul_f32_e32 v58, v3, v7
	global_load_dwordx2 v[4:5], v[4:5], off offset:1024
	v_mul_f32_e32 v1, v2, v7
	v_fmac_f32_e32 v58, v2, v6
	v_fma_f32 v59, v3, v6, -v1
	s_waitcnt vmcnt(28)
	v_mul_f32_e32 v2, v23, v9
	v_mul_f32_e32 v1, v22, v9
	v_fmac_f32_e32 v2, v22, v8
	v_fma_f32 v3, v23, v8, -v1
	s_waitcnt vmcnt(23)
	v_mul_f32_e32 v1, v24, v21
	ds_write2st64_b64 v66, v[58:59], v[2:3] offset1:6
	v_mul_f32_e32 v2, v25, v21
	v_fma_f32 v3, v25, v20, -v1
	s_waitcnt vmcnt(22)
	v_mul_f32_e32 v6, v27, v31
	v_mul_f32_e32 v1, v26, v31
	v_fmac_f32_e32 v2, v24, v20
	v_fmac_f32_e32 v6, v26, v30
	v_fma_f32 v7, v27, v30, -v1
	s_waitcnt vmcnt(21)
	v_mul_f32_e32 v1, v28, v33
	ds_write2st64_b64 v66, v[2:3], v[6:7] offset0:12 offset1:18
	v_mul_f32_e32 v2, v29, v33
	v_fma_f32 v3, v29, v32, -v1
	s_waitcnt vmcnt(20)
	v_mul_f32_e32 v6, v13, v35
	v_mul_f32_e32 v1, v12, v35
	v_fmac_f32_e32 v2, v28, v32
	v_fmac_f32_e32 v6, v12, v34
	v_fma_f32 v7, v13, v34, -v1
	ds_write2st64_b64 v66, v[2:3], v[6:7] offset0:24 offset1:30
	s_waitcnt vmcnt(15)
	v_mul_f32_e32 v1, v14, v45
	v_mul_f32_e32 v2, v15, v45
	v_fma_f32 v3, v15, v44, -v1
	s_waitcnt vmcnt(14)
	v_mul_f32_e32 v6, v19, v47
	v_mul_f32_e32 v1, v18, v47
	v_fmac_f32_e32 v2, v14, v44
	v_fmac_f32_e32 v6, v18, v46
	v_fma_f32 v7, v19, v46, -v1
	s_waitcnt vmcnt(13)
	v_mul_f32_e32 v1, v38, v49
	ds_write2st64_b64 v66, v[2:3], v[6:7] offset0:36 offset1:42
	v_mul_f32_e32 v2, v39, v49
	v_fma_f32 v3, v39, v48, -v1
	s_waitcnt vmcnt(12)
	v_mul_f32_e32 v6, v41, v51
	v_mul_f32_e32 v1, v40, v51
	v_fmac_f32_e32 v2, v38, v48
	v_fmac_f32_e32 v6, v40, v50
	v_fma_f32 v7, v41, v50, -v1
	ds_write2st64_b64 v66, v[2:3], v[6:7] offset0:48 offset1:54
	s_waitcnt vmcnt(7)
	v_mul_f32_e32 v1, v16, v61
	v_mul_f32_e32 v2, v17, v61
	v_fma_f32 v3, v17, v60, -v1
	s_waitcnt vmcnt(6)
	v_mul_f32_e32 v6, v43, v63
	v_mul_f32_e32 v1, v42, v63
	v_fmac_f32_e32 v2, v16, v60
	v_fmac_f32_e32 v6, v42, v62
	v_fma_f32 v7, v43, v62, -v1
	s_waitcnt vmcnt(5)
	v_mul_f32_e32 v1, v54, v65
	ds_write2st64_b64 v66, v[2:3], v[6:7] offset0:60 offset1:66
	v_mul_f32_e32 v2, v55, v65
	v_fma_f32 v3, v55, v64, -v1
	s_waitcnt vmcnt(4)
	v_mul_f32_e32 v6, v57, v71
	v_mul_f32_e32 v1, v56, v71
	v_fmac_f32_e32 v2, v54, v64
	v_fmac_f32_e32 v6, v56, v70
	v_fma_f32 v7, v57, v70, -v1
	s_waitcnt vmcnt(2)
	v_mul_f32_e32 v1, v36, v53
	ds_write2st64_b64 v66, v[2:3], v[6:7] offset0:72 offset1:78
	v_mul_f32_e32 v2, v37, v53
	v_fma_f32 v3, v37, v52, -v1
	s_waitcnt vmcnt(0)
	v_mul_f32_e32 v6, v11, v5
	v_mul_f32_e32 v1, v10, v5
	v_fmac_f32_e32 v2, v36, v52
	v_fmac_f32_e32 v6, v10, v4
	v_fma_f32 v7, v11, v4, -v1
	ds_write2st64_b64 v66, v[2:3], v[6:7] offset0:84 offset1:90
.LBB0_3:
	s_or_b64 exec, exec, s[12:13]
	s_waitcnt lgkmcnt(0)
	s_barrier
	s_waitcnt lgkmcnt(0)
                                        ; implicit-def: $vgpr4
                                        ; implicit-def: $vgpr8
                                        ; implicit-def: $vgpr24
                                        ; implicit-def: $vgpr20
                                        ; implicit-def: $vgpr34
                                        ; implicit-def: $vgpr16
                                        ; implicit-def: $vgpr37
                                        ; implicit-def: $vgpr33
                                        ; implicit-def: $vgpr12
                                        ; implicit-def: $vgpr28
                                        ; implicit-def: $vgpr10
	s_and_saveexec_b64 s[4:5], s[8:9]
	s_cbranch_execz .LBB0_5
; %bb.4:
	ds_read2st64_b64 v[26:29], v66 offset1:6
	ds_read2st64_b64 v[10:13], v66 offset0:12 offset1:18
	ds_read2st64_b64 v[22:25], v66 offset0:24 offset1:72
	ds_read2st64_b64 v[18:21], v66 offset0:54 offset1:60
	ds_read2st64_b64 v[30:33], v66 offset0:30 offset1:36
	ds_read2st64_b64 v[14:17], v66 offset0:42 offset1:48
	ds_read2st64_b64 v[6:9], v66 offset0:66 offset1:78
	ds_read2st64_b64 v[2:5], v66 offset0:84 offset1:90
	s_waitcnt lgkmcnt(4)
	v_mov_b32_e32 v34, v19
	s_waitcnt lgkmcnt(3)
	v_mov_b32_e32 v37, v32
	v_mov_b32_e32 v36, v10
	;; [unrolled: 1-line block ×3, first 2 shown]
.LBB0_5:
	s_or_b64 exec, exec, s[4:5]
	v_mov_b32_e32 v39, 2.0
	s_waitcnt lgkmcnt(2)
	v_mov_b32_e32 v38, v16
	v_pk_add_f32 v[40:41], v[26:27], v[38:39] op_sel_hi:[0,1] neg_lo:[0,1] neg_hi:[0,1]
	v_pk_mul_f32 v[42:43], v[26:27], v[38:39] op_sel_hi:[0,1]
	v_mov_b32_e32 v41, v43
	v_pk_add_f32 v[24:25], v[22:23], v[24:25] neg_lo:[0,1] neg_hi:[0,1]
	v_pk_add_f32 v[42:43], v[10:11], v[20:21] neg_lo:[0,1] neg_hi:[0,1]
	s_waitcnt lgkmcnt(0)
	v_mov_b32_e32 v21, v2
	v_fma_f32 v29, v22, 2.0, -v24
	v_fma_f32 v55, v23, 2.0, -v25
	v_pk_add_f32 v[22:23], v[32:33], v[2:3] neg_lo:[0,1] neg_hi:[0,1]
	v_pk_add_f32 v[20:21], v[36:37], v[20:21] neg_lo:[0,1] neg_hi:[0,1]
	v_mov_b32_e32 v19, v39
	v_add_f32_e32 v45, v11, v11
	v_pk_fma_f32 v[36:37], v[36:37], 2.0, v[20:21] op_sel_hi:[1,0,1] neg_lo:[0,0,1] neg_hi:[0,0,1]
	v_fma_f32 v1, v33, 2.0, -v23
	v_pk_add_f32 v[32:33], v[28:29], v[18:19] op_sel_hi:[0,1] neg_lo:[0,1] neg_hi:[0,1]
	v_pk_mul_f32 v[2:3], v[28:29], v[18:19] op_sel_hi:[0,1]
	v_mov_b32_e32 v11, v20
	v_mov_b32_e32 v35, v23
	;; [unrolled: 1-line block ×3, first 2 shown]
	v_pk_add_f32 v[2:3], v[30:31], v[8:9] neg_lo:[0,1] neg_hi:[0,1]
	v_pk_add_f32 v[8:9], v[14:15], v[4:5] neg_lo:[0,1] neg_hi:[0,1]
	v_mov_b32_e32 v4, v37
	v_pk_add_f32 v[22:23], v[10:11], v[34:35] neg_lo:[0,1] neg_hi:[0,1]
	s_load_dwordx2 s[4:5], s[0:1], 0x20
	s_load_dwordx2 s[10:11], s[0:1], 0x8
	s_mov_b32 s0, 2.0
	v_fma_f32 v47, v30, 2.0, -v2
	v_pk_add_f32 v[38:39], v[12:13], v[6:7] neg_lo:[0,1] neg_hi:[0,1]
	v_add_f32_e32 v18, v13, v13
	v_fma_f32 v7, v14, 2.0, -v8
	v_fma_f32 v13, v15, 2.0, -v9
	v_pk_add_f32 v[14:15], v[36:37], v[4:5] neg_lo:[0,1] neg_hi:[0,1]
	v_pk_add_f32 v[4:5], v[2:3], v[22:23]
	v_mov_b32_e32 v2, v9
	s_mov_b32 s1, 0x3f3504f3
	v_fma_f32 v30, v31, 2.0, -v3
	v_pk_add_f32 v[34:35], v[38:39], v[2:3] neg_lo:[0,1] neg_hi:[0,1]
	v_mov_b32_e32 v2, v3
	v_mov_b32_e32 v3, v32
	;; [unrolled: 1-line block ×3, first 2 shown]
	v_fma_f32 v6, v12, 2.0, -v38
	v_pk_fma_f32 v[48:49], v[10:11], 2.0, v[22:23] op_sel_hi:[1,0,1] neg_lo:[0,0,1] neg_hi:[0,0,1]
	v_pk_add_f32 v[10:11], v[32:33], v[2:3] neg_lo:[0,1] neg_hi:[0,1]
	v_pk_add_f32 v[56:57], v[8:9], v[38:39] op_sel:[0,1]
	v_pk_add_f32 v[2:3], v[8:9], v[38:39] op_sel:[0,1] neg_lo:[0,1] neg_hi:[0,1]
	s_mov_b32 s14, s1
	v_mov_b32_e32 v12, 0x3f3504f3
	v_mul_f32_e32 v46, 0x3f3504f3, v34
	v_pk_mul_f32 v[18:19], v[56:57], s[14:15]
	v_pk_add_f32 v[8:9], v[2:3], v[12:13] neg_lo:[0,1] neg_hi:[0,1]
	v_pk_add_f32 v[60:61], v[10:11], v[46:47] neg_lo:[0,1] neg_hi:[0,1]
	v_mov_b32_e32 v19, v9
	v_fma_f32 v58, v3, 2.0, -v9
	v_pk_add_f32 v[8:9], v[10:11], v[46:47]
	v_pk_add_f32 v[16:17], v[26:27], v[16:17] neg_lo:[0,1] neg_hi:[0,1]
	v_mov_b32_e32 v9, v61
	v_add_f32_e32 v27, v27, v27
	v_sub_f32_e32 v15, v6, v7
	v_mul_f32_e32 v52, 0x3f3504f3, v23
	v_mov_b32_e32 v26, v24
	v_add_f32_e32 v54, v11, v11
	v_pk_add_f32 v[2:3], v[8:9], v[18:19] neg_lo:[0,1] neg_hi:[0,1]
	v_mov_b32_e32 v18, v25
	v_mov_b32_e32 v19, v40
	;; [unrolled: 1-line block ×5, first 2 shown]
	v_fma_f32 v50, v6, 2.0, -v15
	v_pk_add_f32 v[6:7], v[26:27], v[16:17] op_sel:[0,1]
	v_pk_add_f32 v[26:27], v[26:27], v[16:17] neg_lo:[0,1] neg_hi:[0,1]
	v_pk_add_f32 v[18:19], v[40:41], v[18:19] neg_lo:[0,1] neg_hi:[0,1]
	v_mov_b32_e32 v28, v52
	v_mov_b32_e32 v41, v17
	v_pk_fma_f32 v[16:17], v[32:33], 2.0, v[10:11] op_sel_hi:[1,0,1] neg_lo:[0,0,1] neg_hi:[0,0,1]
	v_pk_fma_f32 v[22:23], v[38:39], 2.0, v[34:35] op_sel_hi:[1,0,1] neg_lo:[0,0,1] neg_hi:[0,0,1]
	v_pk_add_f32 v[72:73], v[18:19], v[28:29] neg_lo:[0,1] neg_hi:[0,1]
	v_pk_mul_f32 v[24:25], v[22:23], s[14:15] op_sel_hi:[1,0]
	v_pk_fma_f32 v[28:29], v[22:23], s[14:15], v[16:17] op_sel_hi:[1,0,1] neg_lo:[1,0,0] neg_hi:[1,0,0]
	v_mov_b32_e32 v44, v21
	v_mov_b32_e32 v53, v14
	v_pk_add_f32 v[22:23], v[28:29], v[24:25] op_sel:[0,1] op_sel_hi:[1,0] neg_lo:[0,1] neg_hi:[0,1]
	v_pk_add_f32 v[32:33], v[28:29], v[24:25] op_sel:[0,1] op_sel_hi:[1,0]
	v_mov_b32_e32 v24, v18
	v_mov_b32_e32 v25, v6
	v_pk_add_f32 v[20:21], v[44:45], v[42:43] op_sel:[0,1]
	v_pk_add_f32 v[38:39], v[44:45], v[42:43] op_sel:[0,1] neg_lo:[0,1] neg_hi:[0,1]
	v_mov_b32_e32 v13, v1
	v_pk_add_f32 v[70:71], v[18:19], v[52:53]
	v_pk_fma_f32 v[24:25], v[40:41], 2.0, v[24:25] op_sel_hi:[1,0,1] neg_lo:[0,0,1] neg_hi:[0,0,1]
	v_pk_mul_f32 v[28:29], v[20:21], s[14:15]
	v_pk_add_f32 v[40:41], v[38:39], v[12:13] neg_lo:[0,1] neg_hi:[0,1]
	v_mov_b32_e32 v71, v73
	v_mov_b32_e32 v29, v41
	v_fma_f32 v1, v43, 2.0, -v20
	v_pk_add_f32 v[12:13], v[70:71], v[28:29] neg_lo:[0,1] neg_hi:[0,1]
	v_mov_b32_e32 v29, v55
	v_mul_f32_e32 v31, 0x3f3504f3, v1
	v_mov_b32_e32 v1, v24
	v_pk_add_f32 v[28:29], v[26:27], v[28:29] neg_lo:[0,1] neg_hi:[0,1]
	v_mov_b32_e32 v47, v15
	v_mov_b32_e32 v34, v48
	;; [unrolled: 1-line block ×3, first 2 shown]
	v_pk_fma_f32 v[42:43], v[48:49], s[0:1], v[0:1] neg_lo:[1,0,0] neg_hi:[1,0,0]
	v_mov_b32_e32 v26, v19
	v_mov_b32_e32 v37, v39
	;; [unrolled: 1-line block ×4, first 2 shown]
	v_pk_fma_f32 v[62:63], v[56:57], s[14:15], v[4:5]
	v_pk_fma_f32 v[44:45], v[20:21], s[14:15], v[6:7]
	v_pk_fma_f32 v[14:15], v[36:37], 2.0, v[14:15] op_sel_hi:[1,0,1] neg_lo:[0,0,1] neg_hi:[0,0,1]
	v_pk_fma_f32 v[38:39], v[26:27], 2.0, v[28:29] op_sel_hi:[1,0,1] neg_lo:[0,0,1] neg_hi:[0,0,1]
	v_pk_add_f32 v[34:35], v[34:35], v[30:31] neg_lo:[0,1] neg_hi:[0,1]
	v_mov_b32_e32 v55, v43
	v_mov_b32_e32 v30, v61
	s_mov_b32 s6, 0x3ec3ef15
	s_mov_b32 s7, s1
	v_mul_f32_e32 v51, 0x3ec3ef15, v22
	v_mul_f32_e32 v59, 0x3ec3ef15, v33
	v_mov_b32_e32 v45, v29
	v_pk_add_f32 v[20:21], v[38:39], v[14:15] neg_lo:[0,1] neg_hi:[0,1]
	v_pk_add_f32 v[26:27], v[54:55], v[30:31] neg_lo:[0,1] neg_hi:[0,1]
	v_pk_fma_f32 v[40:41], v[48:49], s[0:1], v[34:35] neg_lo:[0,0,1] neg_hi:[0,0,1]
	v_pk_fma_f32 v[54:55], v[48:49], s[0:1], v[34:35]
	v_mov_b32_e32 v63, v34
	v_pk_mul_f32 v[64:65], v[2:3], s[6:7]
	s_mov_b32 s12, 0x3f6c835e
	v_mul_f32_e32 v57, 0x3f6c835e, v33
	v_mul_f32_e32 v75, 0x3f6c835e, v22
	v_pk_add_f32 v[14:15], v[52:53], v[44:45]
	v_pk_add_f32 v[36:37], v[46:47], v[62:63]
	v_pk_add_f32 v[48:49], v[40:41], v[58:59] neg_lo:[0,1] neg_hi:[0,1]
	v_pk_add_f32 v[46:47], v[54:55], v[58:59]
	v_pk_add_f32 v[52:53], v[26:27], v[50:51] neg_lo:[0,1] neg_hi:[0,1]
	v_pk_add_f32 v[44:45], v[26:27], v[50:51]
	v_mov_b32_e32 v56, v21
	v_mov_b32_e32 v74, v20
	s_mov_b32 s13, s1
	v_mul_f32_e32 v64, 0x3f6c835e, v2
	v_mov_b32_e32 v49, v47
	v_pk_add_f32 v[42:43], v[52:53], v[20:21] op_sel:[0,1] op_sel_hi:[1,0]
	v_pk_add_f32 v[44:45], v[44:45], v[56:57] neg_lo:[0,1] neg_hi:[0,1]
	v_pk_add_f32 v[56:57], v[74:75], v[46:47]
	v_pk_mul_f32 v[50:51], v[36:37], s[12:13]
	v_pk_fma_f32 v[46:47], v[36:37], s[12:13], v[14:15]
	v_mov_b32_e32 v31, v20
	v_mov_b32_e32 v43, v45
	v_pk_add_f32 v[44:45], v[74:75], v[48:49] neg_lo:[0,1] neg_hi:[0,1]
	v_pk_add_f32 v[58:59], v[64:65], v[12:13]
	v_mul_f32_e32 v50, 0x3ec3ef15, v36
	v_pk_fma_f32 v[46:47], v[2:3], s[6:7], v[46:47]
	s_waitcnt lgkmcnt(0)
	s_barrier
	s_and_saveexec_b64 s[0:1], s[2:3]
	s_xor_b64 s[0:1], exec, s[0:1]
; %bb.6:
                                        ; implicit-def: $vgpr4_vgpr5
                                        ; implicit-def: $vgpr6_vgpr7
                                        ; implicit-def: $vgpr10_vgpr11
                                        ; implicit-def: $vgpr2_vgpr3
                                        ; implicit-def: $vgpr18_vgpr19
                                        ; implicit-def: $vgpr16_vgpr17
                                        ; implicit-def: $vgpr22_vgpr23
                                        ; implicit-def: $vgpr32_vgpr33
                                        ; implicit-def: $vgpr24_vgpr25
                                        ; implicit-def: $vgpr12_vgpr13
                                        ; implicit-def: $vgpr38_vgpr39
                                        ; implicit-def: $vgpr20_vgpr21
                                        ; implicit-def: $vgpr14_vgpr15
                                        ; implicit-def: $vgpr34_vgpr35
                                        ; implicit-def: $vgpr26_vgpr27
                                        ; implicit-def: $vgpr36_vgpr37
                                        ; implicit-def: $vgpr40_vgpr41
                                        ; implicit-def: $vgpr54_vgpr55
                                        ; implicit-def: $vgpr52_vgpr53
                                        ; implicit-def: $vgpr30_vgpr31
                                        ; implicit-def: $vgpr48_vgpr49
                                        ; implicit-def: $vgpr28_vgpr29
                                        ; implicit-def: $vgpr8_vgpr9
; %bb.7:
	s_or_saveexec_b64 s[0:1], s[0:1]
	v_mov_b32_e32 v45, v57
	v_pk_add_f32 v[50:51], v[58:59], v[50:51] neg_lo:[0,1] neg_hi:[0,1]
	s_xor_b64 exec, exec, s[0:1]
	s_cbranch_execz .LBB0_9
; %bb.8:
	v_fma_f32 v30, v6, 2.0, -v14
	v_fma_f32 v5, v4, 2.0, -v36
	v_fmamk_f32 v4, v5, 0xbec3ef15, v30
	v_fma_f32 v2, v10, 2.0, -v2
	v_fma_f32 v6, v18, 2.0, -v12
	v_fmamk_f32 v32, v2, 0x3f6c835e, v4
	v_fmamk_f32 v4, v2, 0xbec3ef15, v6
	v_fmac_f32_e32 v4, 0xbf6c835e, v5
	v_mov_b32_e32 v18, v26
	v_mov_b32_e32 v19, v40
	;; [unrolled: 1-line block ×3, first 2 shown]
	v_fma_f32 v8, v6, 2.0, -v4
	v_pk_fma_f32 v[6:7], v[38:39], 2.0, v[20:21] op_sel_hi:[1,0,1] neg_lo:[0,0,1] neg_hi:[0,0,1]
	v_pk_fma_f32 v[18:19], v[18:19], 2.0, v[52:53] op_sel_hi:[1,0,1] neg_lo:[0,0,1] neg_hi:[0,0,1]
	v_mov_b32_e32 v11, v55
	v_mov_b32_e32 v23, v33
	v_pk_add_f32 v[38:39], v[6:7], v[18:19] neg_lo:[0,1] neg_hi:[0,1]
	v_mov_b32_e32 v10, v27
	s_mov_b32 s6, 0xbf6c835e
	v_pk_fma_f32 v[52:53], v[6:7], 2.0, v[38:39] op_sel_hi:[1,0,1] neg_lo:[0,0,1] neg_hi:[0,0,1]
	v_pk_fma_f32 v[6:7], v[16:17], 2.0, v[22:23] op_sel_hi:[1,0,1] neg_lo:[0,0,1] neg_hi:[0,0,1]
	v_pk_fma_f32 v[16:17], v[24:25], 2.0, v[10:11] op_sel_hi:[1,0,1] neg_lo:[0,0,1] neg_hi:[0,0,1]
	v_fma_f32 v1, v14, 2.0, -v46
	v_pk_fma_f32 v[18:19], v[6:7], s[6:7], v[16:17] op_sel_hi:[1,0,1]
	s_mov_b32 s6, 0x3ec3ef15
	v_pk_mul_f32 v[6:7], v[6:7], s[6:7] op_sel_hi:[1,0]
	v_mov_b32_e32 v36, v3
	v_pk_add_f32 v[40:41], v[18:19], v[6:7] op_sel:[0,1] op_sel_hi:[1,0] neg_lo:[0,1] neg_hi:[0,1]
	v_pk_add_f32 v[18:19], v[18:19], v[6:7] op_sel:[0,1] op_sel_hi:[1,0]
	v_mov_b32_e32 v6, v9
	v_mov_b32_e32 v41, v19
	;; [unrolled: 1-line block ×4, first 2 shown]
	v_pk_fma_f32 v[54:55], v[16:17], 2.0, v[40:41] op_sel_hi:[1,0,1] neg_lo:[0,0,1] neg_hi:[0,0,1]
	v_pk_fma_f32 v[2:3], v[6:7], 2.0, v[36:37] op_sel_hi:[1,0,1] neg_lo:[0,0,1] neg_hi:[0,0,1]
	s_mov_b32 s6, 0x3f3504f3
	v_pk_fma_f32 v[16:17], v[28:29], 2.0, v[14:15] op_sel_hi:[1,0,1] neg_lo:[0,0,1] neg_hi:[0,0,1]
	v_pk_mul_f32 v[6:7], v[2:3], s[6:7] op_sel_hi:[1,0]
	v_pk_fma_f32 v[22:23], v[2:3], s[6:7], v[16:17] op_sel_hi:[1,0,1] neg_lo:[1,0,0] neg_hi:[1,0,0]
	v_lshlrev_b32_e32 v35, 7, v0
	v_pk_add_f32 v[2:3], v[22:23], v[6:7] op_sel:[0,1] op_sel_hi:[1,0] neg_lo:[0,1] neg_hi:[0,1]
	v_pk_add_f32 v[22:23], v[22:23], v[6:7] op_sel:[0,1] op_sel_hi:[1,0]
	v_mov_b32_e32 v33, v44
	v_mov_b32_e32 v3, v23
	v_pk_fma_f32 v[6:7], v[16:17], 2.0, v[2:3] op_sel_hi:[1,0,1] neg_lo:[0,0,1] neg_hi:[0,0,1]
	ds_write_b96 v35, v[6:8] offset:16
	v_pk_fma_f32 v[6:7], v[30:31], 2.0, v[32:33] op_sel_hi:[1,0,1] neg_lo:[0,0,1] neg_hi:[0,0,1]
	v_mov_b32_e32 v26, v21
	ds_write2_b32 v35, v6, v7 offset0:7 offset1:8
	v_pk_fma_f32 v[6:7], v[26:27], 2.0, v[42:43] op_sel_hi:[1,0,1] neg_lo:[0,0,1] neg_hi:[0,0,1]
	ds_write2_b32 v35, v6, v7 offset0:9 offset1:10
	v_mov_b32_e32 v6, v11
	v_mov_b32_e32 v7, v13
	;; [unrolled: 1-line block ×4, first 2 shown]
	v_pk_fma_f32 v[6:7], v[6:7], 2.0, v[8:9] op_sel_hi:[1,0,1] neg_lo:[0,0,1] neg_hi:[0,0,1]
	ds_write2_b32 v35, v6, v7 offset0:11 offset1:12
	v_mov_b32_e32 v6, v15
	v_mov_b32_e32 v7, v12
	;; [unrolled: 1-line block ×4, first 2 shown]
	v_pk_fma_f32 v[6:7], v[6:7], 2.0, v[8:9] op_sel_hi:[1,0,1] neg_lo:[0,0,1] neg_hi:[0,0,1]
	v_mov_b32_e32 v5, v32
	ds_write_b128 v35, v[52:55]
	ds_write2_b32 v35, v6, v7 offset0:13 offset1:14
	ds_write_b32 v35, v1 offset:60
	ds_write_b128 v35, v[38:41] offset:64
	ds_write_b128 v35, v[2:5] offset:80
	v_mov_b32_e32 v2, v44
	v_mov_b32_e32 v3, v42
	;; [unrolled: 1-line block ×4, first 2 shown]
	ds_write_b128 v35, v[2:5] offset:96
	v_mov_b32_e32 v2, v51
	v_mov_b32_e32 v3, v47
	;; [unrolled: 1-line block ×4, first 2 shown]
	ds_write_b128 v35, v[2:5] offset:112
.LBB0_9:
	s_or_b64 exec, exec, s[0:1]
	v_and_b32_e32 v1, 15, v0
	v_mad_u64_u32 v[2:3], s[0:1], v1, 24, s[10:11]
	s_load_dwordx4 s[12:15], s[4:5], 0x0
	s_waitcnt lgkmcnt(0)
	s_barrier
	global_load_dwordx4 v[14:17], v[2:3], off
	global_load_dwordx2 v[72:73], v[2:3], off offset:16
	ds_read2st64_b64 v[2:5], v66 offset0:16 offset1:24
	ds_read2st64_b64 v[6:9], v66 offset0:40 offset1:56
	ds_read2st64_b64 v[10:13], v66 offset0:64 offset1:72
	ds_read2st64_b64 v[18:21], v66 offset1:8
	ds_read2st64_b64 v[22:25], v66 offset0:32 offset1:48
	ds_read_b64 v[26:27], v66 offset:45056
	ds_read_b64 v[28:29], v66 offset:40960
	v_or_b32_e32 v48, 0x200, v0
	v_lshlrev_b32_e32 v60, 2, v0
	s_movk_i32 s0, 0x7c0
	s_movk_i32 s1, 0xfc0
	v_and_or_b32 v30, v60, s0, v1
	v_lshlrev_b32_e32 v31, 2, v48
	v_lshlrev_b32_e32 v75, 3, v30
	v_and_or_b32 v30, v31, s1, v1
	v_lshlrev_b32_e32 v125, 3, v30
	s_waitcnt lgkmcnt(0)
	s_barrier
	s_movk_i32 s0, 0x17c0
	v_mov_b32_e32 v49, 0
	s_waitcnt vmcnt(1)
	v_pk_mul_f32 v[30:31], v[6:7], v[14:15] op_sel_hi:[1,0]
	v_mov_b32_e32 v32, v17
	s_waitcnt vmcnt(0)
	v_pk_mul_f32 v[34:35], v[26:27], v[72:73] op_sel_hi:[1,0]
	v_pk_mul_f32 v[36:37], v[22:23], v[14:15] op_sel:[0,1]
	v_pk_mul_f32 v[38:39], v[28:29], v[72:73] op_sel:[0,1]
	;; [unrolled: 1-line block ×4, first 2 shown]
	v_pk_fma_f32 v[54:55], v[6:7], v[14:15], v[30:31] op_sel:[0,0,1] op_sel_hi:[1,1,0] neg_lo:[1,0,0] neg_hi:[1,0,0]
	v_pk_fma_f32 v[6:7], v[6:7], v[14:15], v[30:31] op_sel:[0,1,1] op_sel_hi:[1,1,0]
	v_pk_mul_f32 v[30:31], v[10:11], v[32:33] op_sel_hi:[1,0]
	v_pk_fma_f32 v[56:57], v[26:27], v[72:73], v[34:35] op_sel:[0,0,1] op_sel_hi:[1,1,0] neg_lo:[1,0,0] neg_hi:[1,0,0]
	v_pk_fma_f32 v[26:27], v[26:27], v[72:73], v[34:35] op_sel:[0,1,1] op_sel_hi:[1,1,0]
	v_pk_fma_f32 v[34:35], v[22:23], v[14:15], v[36:37] op_sel:[0,0,1] op_sel_hi:[1,1,0] neg_lo:[0,0,1] neg_hi:[0,0,1]
	v_pk_fma_f32 v[22:23], v[22:23], v[14:15], v[36:37] op_sel:[0,0,1] op_sel_hi:[1,0,0]
	v_pk_mul_f32 v[36:37], v[8:9], v[32:33] op_sel_hi:[1,0]
	v_pk_fma_f32 v[58:59], v[28:29], v[72:73], v[38:39] op_sel:[0,0,1] op_sel_hi:[1,1,0] neg_lo:[0,0,1] neg_hi:[0,0,1]
	v_pk_fma_f32 v[28:29], v[28:29], v[72:73], v[38:39] op_sel:[0,0,1] op_sel_hi:[1,0,0]
	;; [unrolled: 5-line block ×3, first 2 shown]
	v_pk_fma_f32 v[52:53], v[10:11], v[16:17], v[30:31] op_sel:[0,0,1] op_sel_hi:[1,0,0]
	v_pk_fma_f32 v[10:11], v[10:11], v[16:17], v[30:31] op_sel:[0,0,1] op_sel_hi:[1,0,0] neg_lo:[0,0,1] neg_hi:[0,0,1]
	v_mov_b32_e32 v35, v23
	v_pk_fma_f32 v[22:23], v[8:9], v[16:17], v[36:37] op_sel:[0,0,1] op_sel_hi:[1,1,0] neg_lo:[0,0,1] neg_hi:[0,0,1]
	v_pk_fma_f32 v[8:9], v[8:9], v[16:17], v[36:37] op_sel:[0,0,1] op_sel_hi:[1,0,0]
	v_mov_b32_e32 v39, v5
	v_pk_fma_f32 v[4:5], v[24:25], v[16:17], v[32:33] op_sel:[0,0,1] op_sel_hi:[1,1,0] neg_lo:[0,0,1] neg_hi:[0,0,1]
	v_pk_fma_f32 v[24:25], v[24:25], v[16:17], v[32:33] op_sel:[0,0,1] op_sel_hi:[1,0,0]
	v_mov_b32_e32 v7, v55
	v_mov_b32_e32 v27, v57
	;; [unrolled: 1-line block ×7, first 2 shown]
	v_pk_add_f32 v[12:13], v[6:7], v[26:27] neg_lo:[0,1] neg_hi:[0,1]
	v_pk_add_f32 v[8:9], v[34:35], v[58:59] neg_lo:[0,1] neg_hi:[0,1]
	;; [unrolled: 1-line block ×6, first 2 shown]
	v_pk_fma_f32 v[6:7], v[6:7], 2.0, v[12:13] op_sel_hi:[1,0,1] neg_lo:[0,0,1] neg_hi:[0,0,1]
	v_pk_fma_f32 v[26:27], v[34:35], 2.0, v[8:9] op_sel_hi:[1,0,1] neg_lo:[0,0,1] neg_hi:[0,0,1]
	;; [unrolled: 1-line block ×4, first 2 shown]
	v_pk_add_f32 v[30:31], v[10:11], v[12:13]
	v_pk_add_f32 v[40:41], v[10:11], v[12:13] neg_lo:[0,1] neg_hi:[0,1]
	v_pk_fma_f32 v[12:13], v[20:21], 2.0, v[22:23] op_sel_hi:[1,0,1] neg_lo:[0,0,1] neg_hi:[0,0,1]
	v_pk_fma_f32 v[18:19], v[18:19], 2.0, v[4:5] op_sel_hi:[1,0,1] neg_lo:[0,0,1] neg_hi:[0,0,1]
	v_pk_add_f32 v[20:21], v[4:5], v[24:25] op_sel:[0,1] op_sel_hi:[1,0] neg_lo:[0,1] neg_hi:[0,1]
	v_pk_add_f32 v[24:25], v[4:5], v[24:25] op_sel:[0,1] op_sel_hi:[1,0]
	v_pk_add_f32 v[38:39], v[2:3], v[6:7] op_sel:[0,1] op_sel_hi:[1,0] neg_lo:[0,1] neg_hi:[0,1]
	v_mov_b32_e32 v41, v31
	v_pk_add_f32 v[6:7], v[12:13], v[26:27] neg_lo:[0,1] neg_hi:[0,1]
	v_pk_add_f32 v[26:27], v[18:19], v[28:29] neg_lo:[0,1] neg_hi:[0,1]
	v_mov_b32_e32 v21, v25
	v_pk_fma_f32 v[36:37], v[10:11], 2.0, v[40:41] op_sel_hi:[1,0,1] neg_lo:[0,0,1] neg_hi:[0,0,1]
	v_pk_fma_f32 v[10:11], v[18:19], 2.0, v[26:27] op_sel_hi:[1,0,1] neg_lo:[0,0,1] neg_hi:[0,0,1]
	;; [unrolled: 1-line block ×3, first 2 shown]
	ds_write2_b64 v75, v[10:11], v[4:5] offset1:16
	ds_write2_b64 v75, v[26:27], v[20:21] offset0:32 offset1:48
	v_pk_add_f32 v[4:5], v[22:23], v[8:9] op_sel:[0,1] op_sel_hi:[1,0] neg_lo:[0,1] neg_hi:[0,1]
	v_pk_add_f32 v[8:9], v[22:23], v[8:9] op_sel:[0,1] op_sel_hi:[1,0]
	v_pk_fma_f32 v[34:35], v[2:3], 2.0, v[38:39] op_sel_hi:[1,0,1] neg_lo:[0,0,1] neg_hi:[0,0,1]
	v_mov_b32_e32 v5, v9
	v_pk_fma_f32 v[2:3], v[12:13], 2.0, v[6:7] op_sel_hi:[1,0,1] neg_lo:[0,0,1] neg_hi:[0,0,1]
	v_pk_fma_f32 v[8:9], v[22:23], 2.0, v[4:5] op_sel_hi:[1,0,1] neg_lo:[0,0,1] neg_hi:[0,0,1]
	ds_write2_b64 v125, v[2:3], v[8:9] offset1:16
	ds_write2_b64 v125, v[6:7], v[4:5] offset0:32 offset1:48
	v_or_b32_e32 v2, 0x1000, v60
	v_and_or_b32 v1, v2, s0, v1
	v_lshlrev_b32_e32 v126, 3, v1
	ds_write2_b64 v126, v[34:35], v[36:37] offset1:16
	ds_write2_b64 v126, v[38:39], v[40:41] offset0:32 offset1:48
	s_waitcnt lgkmcnt(0)
	s_barrier
	ds_read2st64_b64 v[18:21], v66 offset1:12
	ds_read2st64_b64 v[30:33], v66 offset0:24 offset1:36
	ds_read2st64_b64 v[26:29], v66 offset0:48 offset1:60
	;; [unrolled: 1-line block ×3, first 2 shown]
	s_mov_b64 s[0:1], 0x300
	v_cmp_gt_u64_e64 s[4:5], s[0:1], v[48:49]
	s_mov_b64 s[0:1], 0x2ff
	v_cmp_lt_u64_e64 s[6:7], s[0:1], v[48:49]
	s_and_saveexec_b64 s[0:1], s[6:7]
	s_xor_b64 s[0:1], exec, s[0:1]
	s_or_saveexec_b64 s[0:1], s[0:1]
	v_or_b32_e32 v1, 0x7000, v66
	s_xor_b64 exec, exec, s[0:1]
	s_cbranch_execz .LBB0_11
; %bb.10:
	ds_read_b64 v[44:45], v1
	ds_read2st64_b64 v[2:5], v66 offset0:68 offset1:80
	ds_read2st64_b64 v[34:37], v66 offset0:8 offset1:20
	ds_read_b64 v[50:51], v66 offset:47104
	ds_read2st64_b64 v[38:41], v66 offset0:32 offset1:44
	s_waitcnt lgkmcnt(4)
	v_mov_b32_e32 v42, v45
	s_waitcnt lgkmcnt(3)
	v_mov_b32_e32 v43, v2
	v_mov_b32_e32 v45, v3
	s_waitcnt lgkmcnt(1)
	v_mov_b32_e32 v46, v51
	v_mov_b32_e32 v47, v5
	;; [unrolled: 1-line block ×3, first 2 shown]
.LBB0_11:
	s_or_b64 exec, exec, s[0:1]
	v_and_b32_e32 v123, 63, v0
	v_mad_u64_u32 v[52:53], s[0:1], v123, 56, s[10:11]
	global_load_dwordx4 v[6:9], v[52:53], off offset:384
	global_load_dwordx4 v[10:13], v[52:53], off offset:400
	;; [unrolled: 1-line block ×3, first 2 shown]
	global_load_dwordx2 v[70:71], v[52:53], off offset:432
	v_mov_b32_e32 v52, v37
	s_waitcnt lgkmcnt(0)
	v_mov_b32_e32 v54, v39
	v_mov_b32_e32 v58, v45
	;; [unrolled: 1-line block ×6, first 2 shown]
	s_mov_b32 s0, 0x3f3504f3
	s_barrier
	v_or_b32_e32 v122, 0x5000, v66
	v_or_b32_e32 v69, 0xb000, v66
	v_mov_b32_e32 v67, 0
	v_lshlrev_b32_e32 v130, 3, v48
	s_waitcnt vmcnt(3)
	v_pk_mul_f32 v[76:77], v[38:39], v[8:9]
	v_pk_mul_f32 v[82:83], v[36:37], v[6:7]
	s_waitcnt vmcnt(1)
	v_pk_mul_f32 v[84:85], v[42:43], v[2:3]
	v_mov_b32_e32 v76, v9
	v_pk_mul_f32 v[78:79], v[40:41], v[10:11]
	v_mov_b32_e32 v80, v7
	v_pk_mul_f32 v[86:87], v[46:47], v[4:5]
	v_pk_mul_f32 v[88:89], v[50:51], v[4:5]
	s_waitcnt vmcnt(0)
	v_mov_b32_e32 v82, v71
	v_mov_b32_e32 v84, v13
	v_mov_b32_e32 v78, v11
	v_mov_b32_e32 v86, v13
	v_mov_b32_e32 v88, v77
	v_pk_mul_f32 v[76:77], v[38:39], v[76:77]
	v_mov_b32_e32 v92, v79
	v_pk_mul_f32 v[80:81], v[36:37], v[80:81]
	v_mov_b32_e32 v94, v85
	v_mov_b32_e32 v96, v87
	v_pk_mul_f32 v[100:101], v[46:47], v[82:83]
	v_pk_mul_f32 v[84:85], v[42:43], v[84:85]
	v_mov_b32_e32 v87, v3
	v_mov_b32_e32 v90, v12
	;; [unrolled: 1-line block ×3, first 2 shown]
	v_pk_mul_f32 v[78:79], v[40:41], v[78:79]
	v_pk_mul_f32 v[102:103], v[50:51], v[82:83]
	v_mov_b32_e32 v82, v83
	v_pk_fma_f32 v[40:41], v[40:41], v[10:11], v[92:93] neg_lo:[0,0,1] neg_hi:[0,0,1]
	v_pk_fma_f32 v[52:53], v[52:53], v[6:7], v[80:81]
	v_pk_fma_f32 v[54:55], v[54:55], v[8:9], v[76:77]
	v_pk_fma_f32 v[58:59], v[58:59], v[2:3], v[94:95]
	v_pk_fma_f32 v[50:51], v[50:51], v[70:71], v[100:101] neg_lo:[0,0,1] neg_hi:[0,0,1]
	v_pk_fma_f32 v[76:77], v[44:45], v[12:13], v[84:85] neg_lo:[0,0,1] neg_hi:[0,0,1]
	v_pk_mul_f32 v[44:45], v[44:45], v[86:87]
	v_mov_b32_e32 v98, v89
	v_pk_fma_f32 v[56:57], v[56:57], v[10:11], v[78:79] op_sel_hi:[0,1,1]
	v_pk_fma_f32 v[46:47], v[46:47], v[70:71], v[102:103]
	v_pk_fma_f32 v[36:37], v[36:37], v[6:7], v[82:83] neg_lo:[0,0,1] neg_hi:[0,0,1]
	v_pk_add_f32 v[58:59], v[52:53], v[58:59] neg_lo:[0,1] neg_hi:[0,1]
	v_pk_fma_f32 v[78:79], v[42:43], v[90:91], v[44:45] neg_lo:[0,0,1] neg_hi:[0,0,1]
	v_pk_fma_f32 v[42:43], v[42:43], v[12:13], v[44:45]
	v_pk_add_f32 v[44:45], v[40:41], v[50:51] neg_lo:[0,1] neg_hi:[0,1]
	v_pk_fma_f32 v[38:39], v[38:39], v[8:9], v[88:89] neg_lo:[0,0,1] neg_hi:[0,0,1]
	v_pk_fma_f32 v[60:61], v[60:61], v[4:5], v[96:97] neg_lo:[0,0,1] neg_hi:[0,0,1]
	v_pk_fma_f32 v[62:63], v[62:63], v[4:5], v[98:99]
	v_mov_b32_e32 v65, v36
	v_mov_b32_e32 v43, v79
	;; [unrolled: 1-line block ×4, first 2 shown]
	v_pk_add_f32 v[60:61], v[38:39], v[60:61] neg_lo:[0,1] neg_hi:[0,1]
	v_pk_add_f32 v[62:63], v[54:55], v[62:63] neg_lo:[0,1] neg_hi:[0,1]
	v_fma_f32 v53, v40, 2.0, -v44
	v_pk_add_f32 v[64:65], v[64:65], v[42:43] neg_lo:[0,1] neg_hi:[0,1]
	v_pk_add_f32 v[78:79], v[58:59], v[44:45]
	v_pk_add_f32 v[40:41], v[58:59], v[44:45] neg_lo:[0,1] neg_hi:[0,1]
	v_pk_add_f32 v[76:77], v[34:35], v[76:77] neg_lo:[0,1] neg_hi:[0,1]
	v_fma_f32 v49, v54, 2.0, -v62
	v_add_f32_e32 v54, v58, v58
	v_pk_add_f32 v[44:45], v[60:61], v[64:65]
	v_mov_b32_e32 v79, v41
	v_mov_b32_e32 v55, v65
	;; [unrolled: 1-line block ×4, first 2 shown]
	v_fma_f32 v59, v35, 2.0, -v64
	v_add_f32_e32 v62, v64, v64
	v_fma_f32 v35, v56, 2.0, -v41
	v_mov_b32_e32 v56, v44
	v_pk_add_f32 v[54:55], v[54:55], v[78:79] neg_lo:[0,1] neg_hi:[0,1]
	v_add_f32_e32 v37, v36, v36
	v_mov_b32_e32 v36, v60
	v_pk_add_f32 v[42:43], v[62:63], v[56:57] neg_lo:[0,1] neg_hi:[0,1]
	v_fma_f32 v56, v65, 2.0, -v55
	v_mov_b32_e32 v57, v78
	v_fma_f32 v50, v38, 2.0, -v60
	v_pk_add_f32 v[38:39], v[36:37], v[64:65] neg_lo:[0,1] neg_hi:[0,1]
	v_pk_mul_f32 v[60:61], v[56:57], s[0:1] op_sel_hi:[1,0]
	v_fma_f32 v47, v52, 2.0, -v58
	v_mov_b32_e32 v38, v44
	v_mov_b32_e32 v52, v61
	;; [unrolled: 1-line block ×3, first 2 shown]
	v_pk_add_f32 v[60:61], v[44:45], v[60:61] op_sel:[0,1] op_sel_hi:[1,0]
	v_pk_add_f32 v[52:53], v[38:39], v[52:53] neg_lo:[0,1] neg_hi:[0,1]
	v_sub_f32_e32 v37, v47, v35
	v_mov_b32_e32 v61, v53
	v_mov_b32_e32 v35, v76
	;; [unrolled: 1-line block ×4, first 2 shown]
	v_pk_mul_f32 v[52:53], v[54:55], s[0:1] op_sel_hi:[1,0]
	v_pk_fma_f32 v[44:45], v[34:35], 2.0, v[76:77] op_sel_hi:[1,0,1] neg_lo:[0,0,1] neg_hi:[0,0,1]
	v_mov_b32_e32 v46, v39
	v_mov_b32_e32 v39, v52
	v_pk_add_f32 v[50:51], v[44:45], v[50:51] neg_lo:[0,1] neg_hi:[0,1]
	v_pk_fma_f32 v[34:35], v[46:47], 2.0, v[36:37] op_sel_hi:[1,0,1] neg_lo:[0,0,1] neg_hi:[0,0,1]
	v_mov_b32_e32 v36, v53
	v_mov_b32_e32 v52, v37
	v_mov_b32_e32 v53, v39
	v_mov_b32_e32 v40, v50
	v_pk_add_f32 v[86:87], v[50:51], v[52:53] neg_lo:[0,1] neg_hi:[0,1]
	v_pk_fma_f32 v[50:51], v[54:55], s[0:1], v[42:43] op_sel_hi:[1,0,1] neg_lo:[1,0,0] neg_hi:[1,0,0]
	v_pk_fma_f32 v[52:53], v[54:55], s[0:1], v[42:43] op_sel_hi:[1,0,1]
	v_pk_fma_f32 v[84:85], v[56:57], s[0:1], v[50:51] op_sel_hi:[1,0,1]
	v_pk_fma_f32 v[50:51], v[56:57], s[0:1], v[52:53] op_sel_hi:[1,0,1] neg_lo:[1,0,0] neg_hi:[1,0,0]
	s_movk_i32 s1, 0xe00
	v_mov_b32_e32 v85, v51
	v_pk_mul_f32 v[50:51], v[20:21], v[6:7] op_sel:[0,1]
	v_and_or_b32 v39, v66, s1, v123
	v_pk_fma_f32 v[52:53], v[20:21], v[6:7], v[50:51] op_sel:[0,0,1] op_sel_hi:[1,1,0] neg_lo:[0,0,1] neg_hi:[0,0,1]
	v_pk_fma_f32 v[20:21], v[20:21], v[6:7], v[50:51] op_sel:[0,0,1] op_sel_hi:[1,0,0]
	v_lshlrev_b32_e32 v127, 3, v39
	v_mov_b32_e32 v20, v9
	v_mov_b32_e32 v53, v21
	v_pk_mul_f32 v[20:21], v[30:31], v[20:21] op_sel_hi:[1,0]
	v_sub_f32_e32 v41, v59, v49
	v_pk_fma_f32 v[50:51], v[30:31], v[8:9], v[20:21] op_sel:[0,0,1] op_sel_hi:[1,1,0] neg_lo:[0,0,1] neg_hi:[0,0,1]
	v_pk_fma_f32 v[20:21], v[30:31], v[8:9], v[20:21] op_sel:[0,0,1] op_sel_hi:[1,0,0]
	v_mov_b32_e32 v58, v44
	v_mov_b32_e32 v51, v21
	v_pk_mul_f32 v[20:21], v[32:33], v[10:11] op_sel:[0,1]
	v_pk_fma_f32 v[46:47], v[58:59], 2.0, v[40:41] op_sel_hi:[1,0,1] neg_lo:[0,0,1] neg_hi:[0,0,1]
	v_pk_fma_f32 v[30:31], v[32:33], v[10:11], v[20:21] op_sel:[0,0,1] op_sel_hi:[1,1,0] neg_lo:[0,0,1] neg_hi:[0,0,1]
	v_pk_fma_f32 v[20:21], v[32:33], v[10:11], v[20:21] op_sel:[0,0,1] op_sel_hi:[1,0,0]
	v_mov_b32_e32 v37, v41
	v_mov_b32_e32 v20, v13
	;; [unrolled: 1-line block ×3, first 2 shown]
	v_pk_mul_f32 v[20:21], v[26:27], v[20:21] op_sel_hi:[1,0]
	v_mov_b32_e32 v74, v3
	v_pk_fma_f32 v[32:33], v[26:27], v[12:13], v[20:21] op_sel:[0,0,1] op_sel_hi:[1,1,0] neg_lo:[0,0,1] neg_hi:[0,0,1]
	v_pk_fma_f32 v[20:21], v[26:27], v[12:13], v[20:21] op_sel:[0,0,1] op_sel_hi:[1,0,0]
	v_pk_add_f32 v[34:35], v[46:47], v[34:35] neg_lo:[0,1] neg_hi:[0,1]
	v_mov_b32_e32 v33, v21
	v_pk_mul_f32 v[20:21], v[28:29], v[2:3] op_sel:[0,1]
	v_pk_add_f32 v[36:37], v[36:37], v[60:61]
	v_pk_fma_f32 v[26:27], v[28:29], v[2:3], v[20:21] op_sel:[0,0,1] op_sel_hi:[1,1,0] neg_lo:[0,0,1] neg_hi:[0,0,1]
	v_pk_fma_f32 v[20:21], v[28:29], v[2:3], v[20:21] op_sel:[0,0,1] op_sel_hi:[1,0,0]
	s_nop 0
	v_mov_b32_e32 v20, v5
	v_mov_b32_e32 v27, v21
	v_pk_mul_f32 v[20:21], v[22:23], v[20:21] op_sel_hi:[1,0]
	v_pk_add_f32 v[26:27], v[52:53], v[26:27] neg_lo:[0,1] neg_hi:[0,1]
	v_pk_fma_f32 v[28:29], v[22:23], v[4:5], v[20:21] op_sel:[0,0,1] op_sel_hi:[1,1,0] neg_lo:[0,0,1] neg_hi:[0,0,1]
	v_pk_fma_f32 v[20:21], v[22:23], v[4:5], v[20:21] op_sel:[0,0,1] op_sel_hi:[1,0,0]
	s_nop 0
	v_mov_b32_e32 v29, v21
	v_pk_mul_f32 v[20:21], v[24:25], v[70:71] op_sel:[0,1]
	s_nop 0
	v_pk_fma_f32 v[22:23], v[24:25], v[70:71], v[20:21] op_sel:[0,0,1] op_sel_hi:[1,1,0] neg_lo:[0,0,1] neg_hi:[0,0,1]
	v_pk_fma_f32 v[20:21], v[24:25], v[70:71], v[20:21] op_sel:[0,0,1] op_sel_hi:[1,0,0]
	v_pk_add_f32 v[24:25], v[50:51], v[28:29] neg_lo:[0,1] neg_hi:[0,1]
	v_mov_b32_e32 v23, v21
	v_pk_add_f32 v[20:21], v[18:19], v[32:33] neg_lo:[0,1] neg_hi:[0,1]
	v_pk_fma_f32 v[28:29], v[50:51], 2.0, v[24:25] op_sel_hi:[1,0,1] neg_lo:[0,0,1] neg_hi:[0,0,1]
	v_pk_add_f32 v[22:23], v[30:31], v[22:23] neg_lo:[0,1] neg_hi:[0,1]
	v_pk_add_f32 v[50:51], v[20:21], v[24:25] op_sel:[0,1] op_sel_hi:[1,0] neg_lo:[0,1] neg_hi:[0,1]
	v_pk_add_f32 v[24:25], v[20:21], v[24:25] op_sel:[0,1] op_sel_hi:[1,0]
	v_pk_fma_f32 v[30:31], v[30:31], 2.0, v[22:23] op_sel_hi:[1,0,1] neg_lo:[0,0,1] neg_hi:[0,0,1]
	v_mov_b32_e32 v51, v25
	v_pk_add_f32 v[24:25], v[26:27], v[22:23] op_sel:[0,1] op_sel_hi:[1,0] neg_lo:[0,1] neg_hi:[0,1]
	v_pk_add_f32 v[22:23], v[26:27], v[22:23] op_sel:[0,1] op_sel_hi:[1,0]
	v_pk_fma_f32 v[18:19], v[18:19], 2.0, v[20:21] op_sel_hi:[1,0,1] neg_lo:[0,0,1] neg_hi:[0,0,1]
	v_mov_b32_e32 v25, v23
	v_pk_fma_f32 v[32:33], v[52:53], 2.0, v[26:27] op_sel_hi:[1,0,1] neg_lo:[0,0,1] neg_hi:[0,0,1]
	v_pk_fma_f32 v[20:21], v[20:21], 2.0, v[50:51] op_sel_hi:[1,0,1] neg_lo:[0,0,1] neg_hi:[0,0,1]
	;; [unrolled: 1-line block ×3, first 2 shown]
	v_pk_add_f32 v[28:29], v[18:19], v[28:29] neg_lo:[0,1] neg_hi:[0,1]
	v_pk_add_f32 v[30:31], v[32:33], v[30:31] neg_lo:[0,1] neg_hi:[0,1]
	v_pk_mul_f32 v[26:27], v[22:23], s[0:1] op_sel_hi:[1,0]
	v_pk_fma_f32 v[22:23], v[22:23], s[0:1], v[20:21] op_sel_hi:[1,0,1] neg_lo:[1,0,0] neg_hi:[1,0,0]
	v_pk_fma_f32 v[18:19], v[18:19], 2.0, v[28:29] op_sel_hi:[1,0,1] neg_lo:[0,0,1] neg_hi:[0,0,1]
	v_pk_fma_f32 v[32:33], v[32:33], 2.0, v[30:31] op_sel_hi:[1,0,1] neg_lo:[0,0,1] neg_hi:[0,0,1]
	v_pk_add_f32 v[52:53], v[22:23], v[26:27] op_sel:[0,1] op_sel_hi:[1,0] neg_lo:[0,1] neg_hi:[0,1]
	v_pk_add_f32 v[22:23], v[22:23], v[26:27] op_sel:[0,1] op_sel_hi:[1,0]
	v_pk_add_f32 v[32:33], v[18:19], v[32:33] neg_lo:[0,1] neg_hi:[0,1]
	v_mov_b32_e32 v53, v23
	v_pk_fma_f32 v[18:19], v[18:19], 2.0, v[32:33] op_sel_hi:[1,0,1] neg_lo:[0,0,1] neg_hi:[0,0,1]
	v_pk_fma_f32 v[20:21], v[20:21], 2.0, v[52:53] op_sel_hi:[1,0,1] neg_lo:[0,0,1] neg_hi:[0,0,1]
	v_pk_mul_f32 v[22:23], v[24:25], s[0:1] op_sel_hi:[1,0]
	v_pk_fma_f32 v[24:25], v[24:25], s[0:1], v[50:51] op_sel_hi:[1,0,1]
	ds_write2st64_b64 v127, v[18:19], v[20:21] offset1:1
	v_pk_add_f32 v[18:19], v[28:29], v[30:31] op_sel:[0,1] op_sel_hi:[1,0] neg_lo:[0,1] neg_hi:[0,1]
	v_pk_add_f32 v[20:21], v[28:29], v[30:31] op_sel:[0,1] op_sel_hi:[1,0]
	v_pk_add_f32 v[26:27], v[24:25], v[22:23] op_sel:[0,1] op_sel_hi:[1,0] neg_lo:[0,1] neg_hi:[0,1]
	v_pk_add_f32 v[22:23], v[24:25], v[22:23] op_sel:[0,1] op_sel_hi:[1,0]
	v_mov_b32_e32 v19, v21
	v_mov_b32_e32 v27, v23
	v_pk_fma_f32 v[20:21], v[28:29], 2.0, v[18:19] op_sel_hi:[1,0,1] neg_lo:[0,0,1] neg_hi:[0,0,1]
	v_pk_fma_f32 v[22:23], v[50:51], 2.0, v[26:27] op_sel_hi:[1,0,1] neg_lo:[0,0,1] neg_hi:[0,0,1]
	ds_write2st64_b64 v127, v[20:21], v[22:23] offset0:2 offset1:3
	ds_write2st64_b64 v127, v[32:33], v[52:53] offset0:4 offset1:5
	;; [unrolled: 1-line block ×3, first 2 shown]
	s_and_saveexec_b64 s[0:1], s[4:5]
	s_cbranch_execz .LBB0_13
; %bb.12:
	s_movk_i32 s20, 0x1e00
	v_and_or_b32 v3, v130, s20, v123
	v_mov_b32_e32 v20, v45
	v_mov_b32_e32 v21, v42
	;; [unrolled: 1-line block ×4, first 2 shown]
	v_lshlrev_b32_e32 v3, 3, v3
	v_pk_fma_f32 v[18:19], v[46:47], 2.0, v[34:35] op_sel_hi:[1,0,1] neg_lo:[0,0,1] neg_hi:[0,0,1]
	v_pk_fma_f32 v[20:21], v[20:21], 2.0, v[22:23] op_sel_hi:[1,0,1] neg_lo:[0,0,1] neg_hi:[0,0,1]
	ds_write2st64_b64 v3, v[18:19], v[20:21] offset1:1
	v_mov_b32_e32 v18, v86
	v_mov_b32_e32 v19, v37
	;; [unrolled: 1-line block ×6, first 2 shown]
	v_pk_fma_f32 v[20:21], v[40:41], 2.0, v[18:19] op_sel_hi:[1,0,1] neg_lo:[0,0,1] neg_hi:[0,0,1]
	v_pk_fma_f32 v[24:25], v[24:25], 2.0, v[26:27] op_sel_hi:[1,0,1] neg_lo:[0,0,1] neg_hi:[0,0,1]
	ds_write2st64_b64 v3, v[20:21], v[24:25] offset0:2 offset1:3
	ds_write2st64_b64 v3, v[34:35], v[22:23] offset0:4 offset1:5
	ds_write2st64_b64 v3, v[18:19], v[26:27] offset0:6 offset1:7
.LBB0_13:
	s_or_b64 exec, exec, s[0:1]
	v_lshlrev_b32_e32 v82, 4, v0
	s_waitcnt lgkmcnt(0)
	s_barrier
	global_load_dwordx4 v[18:21], v82, s[10:11] offset:3968
	ds_read2st64_b64 v[22:25], v66 offset0:16 offset1:24
	ds_read_b64 v[42:43], v1
	ds_read2st64_b64 v[26:29], v66 offset1:8
	ds_read2st64_b64 v[30:33], v66 offset0:32 offset1:48
	ds_read2st64_b64 v[38:41], v66 offset0:64 offset1:72
	ds_read_b64 v[44:45], v66 offset:40960
	ds_read_b64 v[46:47], v69
	ds_read_b64 v[48:49], v122
	s_mov_b32 s0, 0x3f5db3d7
	v_mov_b32_e32 v83, v67
	v_lshl_add_u64 v[50:51], s[10:11], 0, v[82:83]
	s_waitcnt lgkmcnt(0)
	s_barrier
	s_movk_i32 s22, 0x2000
	s_movk_i32 s21, 0x5000
	s_mov_b32 s20, 0x8000
	v_or_b32_e32 v3, 0x600, v0
	v_or_b32_e32 v83, 0x1200, v0
	v_lshlrev_b32_e32 v128, 3, v3
	v_lshlrev_b32_e32 v124, 3, v83
	s_waitcnt vmcnt(0)
	v_pk_mul_f32 v[52:53], v[42:43], v[18:19] op_sel:[0,1]
	v_mov_b32_e32 v54, v21
	v_pk_mul_f32 v[56:57], v[30:31], v[18:19] op_sel:[0,1]
	v_pk_mul_f32 v[58:59], v[48:49], v[18:19] op_sel:[0,1]
	v_pk_fma_f32 v[62:63], v[42:43], v[18:19], v[52:53] op_sel:[0,0,1] op_sel_hi:[1,1,0] neg_lo:[0,0,1] neg_hi:[0,0,1]
	v_pk_fma_f32 v[42:43], v[42:43], v[18:19], v[52:53] op_sel:[0,0,1] op_sel_hi:[1,0,0]
	v_pk_mul_f32 v[52:53], v[46:47], v[54:55] op_sel_hi:[1,0]
	v_pk_fma_f32 v[64:65], v[30:31], v[18:19], v[56:57] op_sel:[0,0,1] op_sel_hi:[1,1,0] neg_lo:[0,0,1] neg_hi:[0,0,1]
	v_pk_fma_f32 v[30:31], v[30:31], v[18:19], v[56:57] op_sel:[0,0,1] op_sel_hi:[1,0,0]
	v_pk_mul_f32 v[56:57], v[38:39], v[54:55] op_sel_hi:[1,0]
	v_pk_mul_f32 v[60:61], v[32:33], v[18:19] op_sel:[0,1]
	v_pk_fma_f32 v[76:77], v[48:49], v[18:19], v[58:59] op_sel:[0,0,1] op_sel_hi:[1,1,0] neg_lo:[0,0,1] neg_hi:[0,0,1]
	v_pk_fma_f32 v[48:49], v[48:49], v[18:19], v[58:59] op_sel:[0,0,1] op_sel_hi:[1,0,0]
	v_pk_mul_f32 v[58:59], v[40:41], v[54:55] op_sel_hi:[1,0]
	v_mov_b32_e32 v63, v43
	v_pk_fma_f32 v[42:43], v[46:47], v[20:21], v[52:53] op_sel:[0,0,1] op_sel_hi:[1,1,0] neg_lo:[0,0,1] neg_hi:[0,0,1]
	v_pk_fma_f32 v[46:47], v[46:47], v[20:21], v[52:53] op_sel:[0,0,1] op_sel_hi:[1,0,0]
	v_mov_b32_e32 v65, v31
	v_pk_fma_f32 v[30:31], v[38:39], v[20:21], v[56:57] op_sel:[0,0,1] op_sel_hi:[1,1,0] neg_lo:[0,0,1] neg_hi:[0,0,1]
	v_pk_fma_f32 v[38:39], v[38:39], v[20:21], v[56:57] op_sel:[0,0,1] op_sel_hi:[1,0,0]
	v_pk_fma_f32 v[78:79], v[32:33], v[18:19], v[60:61] op_sel:[0,0,1] op_sel_hi:[1,1,0] neg_lo:[0,0,1] neg_hi:[0,0,1]
	v_pk_fma_f32 v[32:33], v[32:33], v[18:19], v[60:61] op_sel:[0,0,1] op_sel_hi:[1,0,0]
	v_pk_mul_f32 v[54:55], v[44:45], v[54:55] op_sel_hi:[1,0]
	v_mov_b32_e32 v77, v49
	v_pk_fma_f32 v[48:49], v[40:41], v[20:21], v[58:59] op_sel:[0,0,1] op_sel_hi:[1,1,0] neg_lo:[0,0,1] neg_hi:[0,0,1]
	v_pk_fma_f32 v[40:41], v[40:41], v[20:21], v[58:59] op_sel:[0,0,1] op_sel_hi:[1,0,0]
	v_mov_b32_e32 v43, v47
	v_mov_b32_e32 v31, v39
	v_pk_add_f32 v[38:39], v[26:27], v[64:65]
	v_mov_b32_e32 v79, v33
	v_pk_fma_f32 v[32:33], v[44:45], v[20:21], v[54:55] op_sel:[0,0,1] op_sel_hi:[1,1,0] neg_lo:[0,0,1] neg_hi:[0,0,1]
	v_pk_fma_f32 v[44:45], v[44:45], v[20:21], v[54:55] op_sel:[0,0,1] op_sel_hi:[1,0,0]
	v_mov_b32_e32 v49, v41
	v_pk_add_f32 v[40:41], v[28:29], v[76:77]
	v_pk_add_f32 v[46:47], v[62:63], v[42:43]
	v_pk_add_f32 v[52:53], v[62:63], v[42:43] neg_lo:[0,1] neg_hi:[0,1]
	v_pk_add_f32 v[38:39], v[38:39], v[30:31]
	v_pk_add_f32 v[54:55], v[64:65], v[30:31]
	v_pk_add_f32 v[30:31], v[64:65], v[30:31] neg_lo:[0,1] neg_hi:[0,1]
	v_mov_b32_e32 v33, v45
	v_pk_add_f32 v[44:45], v[22:23], v[78:79]
	v_pk_add_f32 v[40:41], v[40:41], v[48:49]
	;; [unrolled: 1-line block ×3, first 2 shown]
	v_pk_add_f32 v[48:49], v[76:77], v[48:49] neg_lo:[0,1] neg_hi:[0,1]
	v_pk_fma_f32 v[46:47], v[46:47], 0.5, v[24:25] op_sel_hi:[1,0,1] neg_lo:[1,0,0] neg_hi:[1,0,0]
	v_pk_mul_f32 v[52:53], v[52:53], s[0:1] op_sel_hi:[1,0]
	v_pk_fma_f32 v[26:27], v[54:55], 0.5, v[26:27] op_sel_hi:[1,0,1] neg_lo:[1,0,0] neg_hi:[1,0,0]
	v_pk_mul_f32 v[30:31], v[30:31], s[0:1] op_sel_hi:[1,0]
	v_pk_add_f32 v[44:45], v[44:45], v[32:33]
	v_pk_add_f32 v[58:59], v[78:79], v[32:33]
	v_pk_add_f32 v[32:33], v[78:79], v[32:33] neg_lo:[0,1] neg_hi:[0,1]
	v_pk_fma_f32 v[28:29], v[56:57], 0.5, v[28:29] op_sel_hi:[1,0,1] neg_lo:[1,0,0] neg_hi:[1,0,0]
	v_pk_mul_f32 v[48:49], v[48:49], s[0:1] op_sel_hi:[1,0]
	v_pk_add_f32 v[54:55], v[46:47], v[52:53] op_sel:[0,1] op_sel_hi:[1,0] neg_lo:[0,1] neg_hi:[0,1]
	v_pk_add_f32 v[46:47], v[46:47], v[52:53] op_sel:[0,1] op_sel_hi:[1,0]
	v_pk_add_f32 v[52:53], v[26:27], v[30:31] op_sel:[0,1] op_sel_hi:[1,0]
	v_pk_add_f32 v[26:27], v[26:27], v[30:31] op_sel:[0,1] op_sel_hi:[1,0] neg_lo:[0,1] neg_hi:[0,1]
	v_pk_fma_f32 v[22:23], v[58:59], 0.5, v[22:23] op_sel_hi:[1,0,1] neg_lo:[1,0,0] neg_hi:[1,0,0]
	v_pk_mul_f32 v[32:33], v[32:33], s[0:1] op_sel_hi:[1,0]
	v_pk_add_f32 v[30:31], v[28:29], v[48:49] op_sel:[0,1] op_sel_hi:[1,0]
	v_pk_add_f32 v[28:29], v[28:29], v[48:49] op_sel:[0,1] op_sel_hi:[1,0] neg_lo:[0,1] neg_hi:[0,1]
	v_mov_b32_e32 v48, v52
	v_mov_b32_e32 v49, v27
	;; [unrolled: 1-line block ×6, first 2 shown]
	ds_write2st64_b64 v66, v[38:39], v[48:49] offset1:8
	ds_write2st64_b64 v66, v[26:27], v[40:41] offset0:16 offset1:24
	ds_write_b64 v122, v[28:29]
	ds_write2st64_b64 v66, v[52:53], v[44:45] offset0:32 offset1:48
	v_pk_add_f32 v[26:27], v[22:23], v[32:33] op_sel:[0,1] op_sel_hi:[1,0] neg_lo:[0,1] neg_hi:[0,1]
	v_pk_add_f32 v[22:23], v[22:23], v[32:33] op_sel:[0,1] op_sel_hi:[1,0]
	v_mov_b32_e32 v29, v27
	v_mov_b32_e32 v28, v22
	;; [unrolled: 1-line block ×3, first 2 shown]
	v_pk_add_f32 v[22:23], v[24:25], v[62:63]
	v_lshl_add_u64 v[38:39], v[50:51], 0, v[66:67]
	ds_write_b64 v1, v[28:29]
	v_pk_add_f32 v[22:23], v[22:23], v[42:43]
	s_mov_b64 s[0:1], 0x2f80
	v_add_co_u32_e32 v28, vcc, s22, v38
	ds_write2st64_b64 v66, v[26:27], v[22:23] offset0:64 offset1:72
	v_mov_b32_e32 v22, v46
	v_mov_b32_e32 v23, v55
	;; [unrolled: 1-line block ×3, first 2 shown]
	v_lshl_add_u64 v[26:27], v[38:39], 0, s[0:1]
	v_addc_co_u32_e32 v29, vcc, 0, v39, vcc
	ds_write_b64 v66, v[22:23] offset:40960
	ds_write_b64 v69, v[54:55]
	s_waitcnt lgkmcnt(0)
	s_barrier
	global_load_dwordx4 v[22:25], v[28:29], off offset:3968
	global_load_dwordx2 v[76:77], v[26:27], off offset:16
	v_add_co_u32_e32 v26, vcc, s21, v38
	s_mov_b64 s[0:1], 0x5f80
	s_nop 0
	v_addc_co_u32_e32 v27, vcc, 0, v39, vcc
	global_load_dwordx4 v[26:29], v[26:27], off offset:3968
	v_lshl_add_u64 v[30:31], v[38:39], 0, s[0:1]
	global_load_dwordx2 v[78:79], v[30:31], off offset:16
	v_add_co_u32_e32 v30, vcc, s20, v38
	s_mov_b64 s[0:1], 0x8f80
	s_nop 0
	v_addc_co_u32_e32 v31, vcc, 0, v39, vcc
	global_load_dwordx4 v[30:33], v[30:31], off offset:3968
	v_lshl_add_u64 v[38:39], v[38:39], 0, s[0:1]
	global_load_dwordx2 v[80:81], v[38:39], off offset:16
	ds_read2st64_b64 v[46:49], v66 offset1:8
	ds_read2st64_b64 v[56:59], v66 offset0:16 offset1:24
	ds_read_b64 v[50:51], v69
	ds_read2st64_b64 v[38:41], v66 offset0:32 offset1:48
	ds_read2st64_b64 v[42:45], v66 offset0:64 offset1:72
	ds_read_b64 v[52:53], v122
	ds_read_b64 v[54:55], v1
	s_waitcnt lgkmcnt(5)
	v_mov_b32_e32 v60, v59
	s_waitcnt lgkmcnt(3)
	v_mov_b32_e32 v62, v41
	v_mov_b32_e32 v88, v39
	s_waitcnt lgkmcnt(2)
	v_mov_b32_e32 v64, v45
	v_or_b32_e32 v67, 0xc00, v0
	v_lshlrev_b32_e32 v129, 3, v67
	s_waitcnt vmcnt(5)
	v_mov_b32_e32 v96, v25
	v_pk_mul_f32 v[90:91], v[58:59], v[22:23]
	v_mov_b32_e32 v92, v23
	v_pk_mul_f32 v[94:95], v[40:41], v[24:25]
	s_waitcnt vmcnt(4)
	v_pk_mul_f32 v[98:99], v[44:45], v[76:77]
	v_pk_mul_f32 v[40:41], v[40:41], v[96:97]
	;; [unrolled: 1-line block ×3, first 2 shown]
	s_waitcnt vmcnt(3)
	v_mov_b32_e32 v104, v27
	v_pk_mul_f32 v[102:103], v[38:39], v[26:27]
	v_pk_mul_f32 v[38:39], v[38:39], v[104:105]
	v_mov_b32_e32 v92, v90
	v_mov_b32_e32 v93, v98
	;; [unrolled: 1-line block ×3, first 2 shown]
	v_pk_fma_f32 v[40:41], v[62:63], v[24:25], v[40:41]
	v_pk_fma_f32 v[62:63], v[88:89], v[26:27], v[38:39]
	s_waitcnt lgkmcnt(0)
	v_pk_mul_f32 v[38:39], v[54:55], v[28:29]
	v_pk_fma_f32 v[58:59], v[60:61], v[22:23], v[58:59]
	v_pk_add_f32 v[60:61], v[92:93], v[98:99] neg_lo:[0,1] neg_hi:[0,1]
	v_sub_f32_e32 v92, v38, v39
	ds_read_b64 v[38:39], v66 offset:40960
	v_mov_b32_e32 v100, v77
	v_pk_mul_f32 v[44:45], v[44:45], v[100:101]
	v_mov_b32_e32 v88, v29
	v_pk_fma_f32 v[44:45], v[64:65], v[76:77], v[44:45]
	v_mov_b32_e32 v64, v55
	v_pk_mul_f32 v[54:55], v[54:55], v[88:89]
	v_mov_b32_e32 v88, v102
	v_pk_fma_f32 v[54:55], v[64:65], v[28:29], v[54:55]
	s_waitcnt vmcnt(2) lgkmcnt(0)
	v_pk_mul_f32 v[64:65], v[38:39], v[78:79]
	v_mov_b32_e32 v90, v79
	v_mov_b32_e32 v89, v64
	;; [unrolled: 1-line block ×3, first 2 shown]
	v_pk_add_f32 v[64:65], v[88:89], v[64:65] neg_lo:[0,1] neg_hi:[0,1]
	v_mov_b32_e32 v88, v39
	v_pk_mul_f32 v[38:39], v[38:39], v[90:91]
	s_waitcnt vmcnt(1)
	v_mov_b32_e32 v90, v33
	v_pk_fma_f32 v[88:89], v[88:89], v[78:79], v[38:39]
	v_pk_mul_f32 v[38:39], v[42:43], v[32:33]
	v_sub_f32_e32 v95, v94, v95
	v_sub_f32_e32 v98, v38, v39
	v_mov_b32_e32 v38, v43
	v_pk_mul_f32 v[42:43], v[42:43], v[90:91]
	s_waitcnt vmcnt(0)
	v_mul_f32_e32 v96, v50, v81
	v_pk_fma_f32 v[90:91], v[38:39], v[32:33], v[42:43]
	v_mul_f32_e32 v38, v53, v31
	v_fma_f32 v91, v52, v30, -v38
	v_mul_f32_e32 v38, v51, v81
	v_mov_b32_e32 v42, v61
	v_fma_f32 v97, v50, v80, -v38
	v_fmac_f32_e32 v96, v51, v80
	v_add_f32_e32 v38, v46, v46
	v_pk_add_f32 v[42:43], v[60:61], v[42:43] neg_lo:[0,1] neg_hi:[0,1]
	v_sub_f32_e32 v50, v46, v95
	v_mov_b32_e32 v39, v47
	v_mov_b32_e32 v51, v40
	v_add_f32_e32 v59, v60, v60
	v_mov_b32_e32 v45, v42
	v_pk_add_f32 v[60:61], v[38:39], v[50:51] neg_lo:[0,1] neg_hi:[0,1]
	v_pk_add_f32 v[44:45], v[58:59], v[44:45] neg_lo:[0,1] neg_hi:[0,1]
	v_mov_b32_e32 v51, v60
	v_mul_f32_e32 v94, v52, v31
	v_pk_add_f32 v[40:41], v[50:51], v[44:45] neg_lo:[0,1] neg_hi:[0,1]
	v_fmac_f32_e32 v94, v53, v30
	v_fma_f32 v52, v58, 2.0, -v44
	v_add_f32_e32 v59, v50, v50
	v_fma_f32 v58, v47, 2.0, -v61
	v_mov_b32_e32 v38, v61
	v_mov_b32_e32 v53, v40
	v_pk_add_f32 v[46:47], v[38:39], v[42:43]
	v_pk_add_f32 v[38:39], v[58:59], v[52:53] neg_lo:[0,1] neg_hi:[0,1]
	v_mov_b32_e32 v44, v65
	v_fma_f32 v45, v58, 2.0, -v38
	v_add_f32_e32 v51, v48, v48
	v_pk_add_f32 v[58:59], v[64:65], v[44:45] neg_lo:[0,1] neg_hi:[0,1]
	v_sub_f32_e32 v55, v48, v92
	v_mov_b32_e32 v50, v49
	v_mov_b32_e32 v42, v41
	;; [unrolled: 1-line block ×3, first 2 shown]
	v_add_f32_e32 v63, v64, v64
	v_mov_b32_e32 v89, v58
	v_pk_add_f32 v[50:51], v[50:51], v[54:55] neg_lo:[0,1] neg_hi:[0,1]
	v_pk_fma_f32 v[42:43], v[60:61], 2.0, v[42:43] op_sel_hi:[1,0,1] neg_lo:[0,0,1] neg_hi:[0,0,1]
	v_pk_add_f32 v[52:53], v[62:63], v[88:89] neg_lo:[0,1] neg_hi:[0,1]
	v_add_f32_e32 v61, v55, v55
	v_mov_b32_e32 v54, v55
	v_mov_b32_e32 v55, v51
	v_fma_f32 v48, v62, 2.0, -v52
	v_pk_add_f32 v[52:53], v[54:55], v[52:53] neg_lo:[0,1] neg_hi:[0,1]
	v_fma_f32 v60, v49, 2.0, -v50
	v_mov_b32_e32 v49, v52
	v_pk_add_f32 v[92:93], v[60:61], v[48:49] neg_lo:[0,1] neg_hi:[0,1]
	v_sub_f32_e32 v97, v91, v97
	v_add_f32_e32 v95, v91, v91
	v_pk_add_f32 v[64:65], v[50:51], v[58:59]
	v_fma_f32 v55, v60, 2.0, -v92
	v_add_f32_e32 v48, v56, v56
	v_sub_f32_e32 v58, v56, v98
	v_pk_add_f32 v[60:61], v[94:95], v[96:97] neg_lo:[0,1] neg_hi:[0,1]
	v_mov_b32_e32 v49, v57
	v_mov_b32_e32 v59, v90
	v_fma_f32 v56, v94, 2.0, -v60
	v_pk_add_f32 v[94:95], v[48:49], v[58:59] neg_lo:[0,1] neg_hi:[0,1]
	v_mov_b32_e32 v65, v53
	v_mov_b32_e32 v59, v94
	v_pk_add_f32 v[88:89], v[58:59], v[60:61] neg_lo:[0,1] neg_hi:[0,1]
	v_add_f32_e32 v49, v95, v97
	v_add_f32_e32 v63, v58, v58
	v_fma_f32 v62, v57, 2.0, -v95
	v_mov_b32_e32 v60, v89
	v_mov_b32_e32 v57, v88
	;; [unrolled: 1-line block ×3, first 2 shown]
	v_pk_fma_f32 v[50:51], v[50:51], 2.0, v[64:65] op_sel_hi:[1,0,1] neg_lo:[0,0,1] neg_hi:[0,0,1]
	v_pk_add_f32 v[90:91], v[62:63], v[56:57] neg_lo:[0,1] neg_hi:[0,1]
	v_pk_fma_f32 v[60:61], v[94:95], 2.0, v[60:61] op_sel_hi:[1,0,1] neg_lo:[0,0,1] neg_hi:[0,0,1]
	v_fma_f32 v59, v62, 2.0, -v90
	v_mov_b32_e32 v56, v39
	v_mov_b32_e32 v57, v43
	;; [unrolled: 1-line block ×7, first 2 shown]
	ds_write2st64_b64 v66, v[96:97], v[62:63] offset0:32 offset1:48
	v_mov_b32_e32 v62, v53
	v_mov_b32_e32 v63, v92
	ds_write2st64_b64 v66, v[58:59], v[56:57] offset0:16 offset1:24
	v_mov_b32_e32 v56, v91
	v_mov_b32_e32 v57, v61
	v_mov_b32_e32 v44, v42
	v_mov_b32_e32 v94, v40
	v_mov_b32_e32 v95, v46
	v_mov_b32_e32 v54, v51
	ds_write_b64 v1, v[62:63]
	v_mov_b32_e32 v62, v52
	v_mov_b32_e32 v63, v64
	ds_write_b64 v122, v[56:57]
	v_mov_b32_e32 v56, v89
	v_mov_b32_e32 v57, v90
	;; [unrolled: 1-line block ×3, first 2 shown]
	ds_write2st64_b64 v66, v[44:45], v[54:55] offset1:8
	ds_write_b64 v66, v[62:63] offset:40960
	ds_write2st64_b64 v66, v[56:57], v[94:95] offset0:64 offset1:72
	ds_write_b64 v69, v[48:49]
	s_waitcnt lgkmcnt(0)
	s_barrier
	s_and_saveexec_b64 s[0:1], s[8:9]
	s_cbranch_execz .LBB0_15
; %bb.14:
	s_add_u32 s10, s16, 0xc000
	s_addc_u32 s11, s17, 0
	global_load_dwordx2 v[62:63], v66, s[10:11]
	ds_read2st64_b64 v[94:97], v66 offset1:6
	v_mov_b32_e32 v67, 0
	v_lshl_add_u64 v[56:57], s[10:11], 0, v[66:67]
	s_movk_i32 s23, 0x1000
	s_waitcnt vmcnt(0) lgkmcnt(0)
	v_mul_f32_e32 v3, v95, v63
	v_mul_f32_e32 v99, v94, v63
	v_fma_f32 v98, v94, v62, -v3
	v_fmac_f32_e32 v99, v95, v62
	global_load_dwordx2 v[62:63], v66, s[10:11] offset:3072
	s_waitcnt vmcnt(0)
	v_mul_f32_e32 v3, v97, v63
	v_mul_f32_e32 v95, v96, v63
	v_fma_f32 v94, v96, v62, -v3
	v_fmac_f32_e32 v95, v97, v62
	v_add_co_u32_e32 v62, vcc, s23, v56
	ds_write2st64_b64 v66, v[98:99], v[94:95] offset1:6
	s_nop 0
	v_addc_co_u32_e32 v63, vcc, 0, v57, vcc
	global_load_dwordx2 v[62:63], v[62:63], off offset:2048
	ds_read2st64_b64 v[94:97], v66 offset0:12 offset1:18
	s_waitcnt vmcnt(0) lgkmcnt(0)
	v_mul_f32_e32 v3, v95, v63
	v_mul_f32_e32 v99, v94, v63
	v_fma_f32 v98, v94, v62, -v3
	v_fmac_f32_e32 v99, v95, v62
	v_add_co_u32_e32 v62, vcc, s22, v56
	s_movk_i32 s22, 0x3000
	s_nop 0
	v_addc_co_u32_e32 v63, vcc, 0, v57, vcc
	global_load_dwordx2 v[62:63], v[62:63], off offset:1024
	s_waitcnt vmcnt(0)
	v_mul_f32_e32 v3, v97, v63
	v_mul_f32_e32 v95, v96, v63
	v_fma_f32 v94, v96, v62, -v3
	v_fmac_f32_e32 v95, v97, v62
	global_load_dwordx2 v[62:63], v128, s[10:11]
	ds_write2st64_b64 v66, v[98:99], v[94:95] offset0:12 offset1:18
	ds_read2st64_b64 v[94:97], v66 offset0:24 offset1:30
	s_waitcnt vmcnt(0) lgkmcnt(0)
	v_mul_f32_e32 v3, v95, v63
	v_mul_f32_e32 v99, v94, v63
	v_fma_f32 v98, v94, v62, -v3
	v_fmac_f32_e32 v99, v95, v62
	v_add_co_u32_e32 v62, vcc, s22, v56
	s_movk_i32 s22, 0x4000
	s_nop 0
	v_addc_co_u32_e32 v63, vcc, 0, v57, vcc
	global_load_dwordx2 v[62:63], v[62:63], off offset:3072
	s_waitcnt vmcnt(0)
	v_mul_f32_e32 v3, v97, v63
	v_mul_f32_e32 v95, v96, v63
	v_fma_f32 v94, v96, v62, -v3
	v_fmac_f32_e32 v95, v97, v62
	v_add_co_u32_e32 v62, vcc, s22, v56
	ds_write2st64_b64 v66, v[98:99], v[94:95] offset0:24 offset1:30
	s_nop 0
	v_addc_co_u32_e32 v63, vcc, 0, v57, vcc
	global_load_dwordx2 v[62:63], v[62:63], off offset:2048
	ds_read2st64_b64 v[94:97], v66 offset0:36 offset1:42
	s_waitcnt vmcnt(0) lgkmcnt(0)
	v_mul_f32_e32 v3, v95, v63
	v_mul_f32_e32 v99, v94, v63
	v_fma_f32 v98, v94, v62, -v3
	v_fmac_f32_e32 v99, v95, v62
	v_add_co_u32_e32 v62, vcc, s21, v56
	s_movk_i32 s21, 0x6000
	s_nop 0
	v_addc_co_u32_e32 v63, vcc, 0, v57, vcc
	global_load_dwordx2 v[62:63], v[62:63], off offset:1024
	s_waitcnt vmcnt(0)
	v_mul_f32_e32 v3, v97, v63
	v_mul_f32_e32 v95, v96, v63
	v_fma_f32 v94, v96, v62, -v3
	v_fmac_f32_e32 v95, v97, v62
	global_load_dwordx2 v[62:63], v129, s[10:11]
	ds_write2st64_b64 v66, v[98:99], v[94:95] offset0:36 offset1:42
	ds_read2st64_b64 v[94:97], v66 offset0:48 offset1:54
	s_waitcnt vmcnt(0) lgkmcnt(0)
	v_mul_f32_e32 v3, v95, v63
	v_mul_f32_e32 v99, v94, v63
	v_fma_f32 v98, v94, v62, -v3
	v_fmac_f32_e32 v99, v95, v62
	v_add_co_u32_e32 v62, vcc, s21, v56
	s_movk_i32 s21, 0x7000
	s_nop 0
	v_addc_co_u32_e32 v63, vcc, 0, v57, vcc
	global_load_dwordx2 v[62:63], v[62:63], off offset:3072
	s_waitcnt vmcnt(0)
	v_mul_f32_e32 v3, v97, v63
	v_mul_f32_e32 v95, v96, v63
	v_fma_f32 v94, v96, v62, -v3
	v_fmac_f32_e32 v95, v97, v62
	v_add_co_u32_e32 v62, vcc, s21, v56
	ds_write2st64_b64 v66, v[98:99], v[94:95] offset0:48 offset1:54
	s_nop 0
	v_addc_co_u32_e32 v63, vcc, 0, v57, vcc
	global_load_dwordx2 v[62:63], v[62:63], off offset:2048
	ds_read2st64_b64 v[94:97], v66 offset0:60 offset1:66
	s_waitcnt vmcnt(0) lgkmcnt(0)
	v_mul_f32_e32 v3, v95, v63
	v_mul_f32_e32 v99, v94, v63
	v_fma_f32 v98, v94, v62, -v3
	v_fmac_f32_e32 v99, v95, v62
	v_add_co_u32_e32 v62, vcc, s20, v56
	s_nop 1
	v_addc_co_u32_e32 v63, vcc, 0, v57, vcc
	global_load_dwordx2 v[62:63], v[62:63], off offset:1024
	s_waitcnt vmcnt(0)
	v_mul_f32_e32 v3, v97, v63
	v_mul_f32_e32 v95, v96, v63
	v_fma_f32 v94, v96, v62, -v3
	v_fmac_f32_e32 v95, v97, v62
	global_load_dwordx2 v[62:63], v124, s[10:11]
	ds_write2st64_b64 v66, v[98:99], v[94:95] offset0:60 offset1:66
	ds_read2st64_b64 v[94:97], v66 offset0:72 offset1:78
	s_mov_b32 s10, 0x9000
	s_waitcnt vmcnt(0) lgkmcnt(0)
	v_mul_f32_e32 v3, v95, v63
	v_mul_f32_e32 v99, v94, v63
	v_fma_f32 v98, v94, v62, -v3
	v_fmac_f32_e32 v99, v95, v62
	v_add_co_u32_e32 v62, vcc, s10, v56
	s_mov_b32 s10, 0xa000
	s_nop 0
	v_addc_co_u32_e32 v63, vcc, 0, v57, vcc
	global_load_dwordx2 v[62:63], v[62:63], off offset:3072
	s_waitcnt vmcnt(0)
	v_mul_f32_e32 v3, v97, v63
	v_mul_f32_e32 v95, v96, v63
	v_fma_f32 v94, v96, v62, -v3
	v_fmac_f32_e32 v95, v97, v62
	v_add_co_u32_e32 v62, vcc, s10, v56
	ds_write2st64_b64 v66, v[98:99], v[94:95] offset0:72 offset1:78
	s_nop 0
	v_addc_co_u32_e32 v63, vcc, 0, v57, vcc
	v_add_co_u32_e32 v56, vcc, 0xb000, v56
	global_load_dwordx2 v[62:63], v[62:63], off offset:2048
	s_nop 0
	v_addc_co_u32_e32 v57, vcc, 0, v57, vcc
	global_load_dwordx2 v[56:57], v[56:57], off offset:1024
	ds_read2st64_b64 v[94:97], v66 offset0:84 offset1:90
	s_waitcnt vmcnt(1) lgkmcnt(0)
	v_mul_f32_e32 v3, v95, v63
	v_fma_f32 v98, v94, v62, -v3
	v_mul_f32_e32 v99, v94, v63
	s_waitcnt vmcnt(0)
	v_mul_f32_e32 v3, v97, v57
	v_mul_f32_e32 v63, v96, v57
	v_fmac_f32_e32 v99, v95, v62
	v_fma_f32 v62, v96, v56, -v3
	v_fmac_f32_e32 v63, v97, v56
	ds_write2st64_b64 v66, v[98:99], v[62:63] offset0:84 offset1:90
.LBB0_15:
	s_or_b64 exec, exec, s[0:1]
	s_waitcnt lgkmcnt(0)
	s_barrier
	s_waitcnt lgkmcnt(0)
                                        ; implicit-def: $vgpr102_vgpr103
                                        ; implicit-def: $vgpr104_vgpr105
                                        ; implicit-def: $vgpr94_vgpr95
                                        ; implicit-def: $vgpr100_vgpr101
                                        ; implicit-def: $vgpr98_vgpr99
                                        ; implicit-def: $vgpr96_vgpr97
                                        ; implicit-def: $vgpr62_vgpr63
	s_and_saveexec_b64 s[0:1], s[2:3]
	s_xor_b64 s[0:1], exec, s[0:1]
; %bb.16:
	v_mov_b64_e32 v[102:103], v[42:43]
	v_mov_b64_e32 v[104:105], v[38:39]
	;; [unrolled: 1-line block ×7, first 2 shown]
; %bb.17:
	s_andn2_saveexec_b64 s[0:1], s[0:1]
	s_cbranch_execz .LBB0_19
; %bb.18:
	ds_read2st64_b64 v[42:45], v66 offset1:6
	ds_read2st64_b64 v[38:41], v66 offset0:12 offset1:18
	ds_read2st64_b64 v[54:57], v66 offset0:24 offset1:30
	;; [unrolled: 1-line block ×7, first 2 shown]
	s_waitcnt lgkmcnt(4)
	v_mov_b32_e32 v84, v37
	s_waitcnt lgkmcnt(3)
	v_mov_b32_e32 v85, v64
	v_mov_b32_e32 v86, v62
	;; [unrolled: 1-line block ×3, first 2 shown]
	s_waitcnt lgkmcnt(0)
	v_mov_b32_e32 v88, v48
	v_mov_b32_e32 v89, v46
	;; [unrolled: 1-line block ×27, first 2 shown]
.LBB0_19:
	s_or_b64 exec, exec, s[0:1]
	v_mov_b32_e32 v38, v45
	v_mov_b32_e32 v44, v45
	v_mov_b32_e32 v107, 2.0
	v_mov_b32_e32 v106, v59
	v_pk_add_f32 v[44:45], v[44:45], v[106:107] op_sel_hi:[0,1] neg_lo:[0,1] neg_hi:[0,1]
	v_pk_add_f32 v[58:59], v[38:39], v[38:39]
	v_mov_b32_e32 v38, v101
	v_mov_b32_e32 v45, v58
	v_pk_add_f32 v[58:59], v[38:39], v[34:35] neg_lo:[0,1] neg_hi:[0,1]
	v_add_f32_e32 v111, v41, v41
	v_mov_b32_e32 v34, v97
	v_mov_b32_e32 v108, v104
	;; [unrolled: 1-line block ×5, first 2 shown]
	v_add_f32_e32 v41, v39, v39
	v_pk_add_f32 v[38:39], v[98:99], v[86:87] neg_lo:[0,1] neg_hi:[0,1]
	v_pk_add_f32 v[56:57], v[102:103], v[60:61] neg_lo:[0,1] neg_hi:[0,1]
	v_add_f32_e32 v43, v42, v42
	v_sub_f32_e32 v42, v55, v35
	v_pk_add_f32 v[34:35], v[34:35], v[86:87] neg_lo:[0,1] neg_hi:[0,1]
	v_pk_add_f32 v[62:63], v[108:109], v[62:63] neg_lo:[0,1] neg_hi:[0,1]
	v_pk_add_f32 v[60:61], v[102:103], v[106:107] op_sel:[1,0] neg_lo:[0,1] neg_hi:[0,1]
	v_pk_add_f32 v[102:103], v[102:103], v[102:103]
	v_pk_add_f32 v[86:87], v[100:101], v[84:85] neg_lo:[0,1] neg_hi:[0,1]
	v_mov_b32_e32 v38, v85
	v_mov_b32_e32 v47, v94
	;; [unrolled: 1-line block ×4, first 2 shown]
	v_fma_f32 v83, v53, 2.0, -v34
	v_pk_fma_f32 v[108:109], v[108:109], 2.0, v[62:63] op_sel_hi:[1,0,1] neg_lo:[0,0,1] neg_hi:[0,0,1]
	v_pk_add_f32 v[90:91], v[104:105], v[90:91] neg_lo:[0,1] neg_hi:[0,1]
	v_mov_b32_e32 v61, v103
	v_fma_f32 v53, v93, 2.0, -v39
	v_add_f32_e32 v93, v40, v40
	v_pk_add_f32 v[84:85], v[96:97], v[38:39] neg_lo:[0,1] neg_hi:[0,1]
	v_sub_f32_e32 v92, v64, v36
	v_pk_add_f32 v[112:113], v[42:43], v[56:57] op_sel_hi:[1,0]
	v_mov_b32_e32 v87, v41
	v_mov_b32_e32 v38, v39
	;; [unrolled: 1-line block ×3, first 2 shown]
	v_pk_add_f32 v[48:49], v[46:47], v[48:49] neg_lo:[0,1] neg_hi:[0,1]
	v_fma_f32 v67, v51, 2.0, -v58
	v_fma_f32 v37, v55, 2.0, -v42
	v_pk_add_f32 v[54:55], v[94:95], v[88:89] neg_lo:[0,1] neg_hi:[0,1]
	v_fma_f32 v89, v50, 2.0, -v86
	v_mov_b32_e32 v36, v109
	v_pk_add_f32 v[100:101], v[62:63], v[34:35] neg_lo:[0,1] neg_hi:[0,1]
	s_mov_b32 s10, 0x3f3504f3
	v_pk_add_f32 v[34:35], v[42:43], v[56:57] op_sel_hi:[1,0] neg_lo:[0,1] neg_hi:[0,1]
	v_fma_f32 v3, v56, 2.0, -v112
	v_pk_add_f32 v[50:51], v[86:87], v[90:91] op_sel:[0,1]
	v_pk_add_f32 v[40:41], v[86:87], v[90:91] op_sel:[0,1] neg_lo:[0,1] neg_hi:[0,1]
	v_pk_add_f32 v[56:57], v[60:61], v[38:39] neg_lo:[0,1] neg_hi:[0,1]
	v_pk_add_f32 v[86:87], v[92:93], v[48:49] op_sel:[0,1]
	v_fma_f32 v99, v52, 2.0, -v84
	v_fma_f32 v52, v64, 2.0, -v92
	v_pk_add_f32 v[64:65], v[108:109], v[36:37] neg_lo:[0,1] neg_hi:[0,1]
	v_fma_f32 v38, v60, 2.0, -v56
	v_fma_f32 v36, v46, 2.0, -v48
	v_pk_add_f32 v[60:61], v[48:49], v[84:85] neg_lo:[0,1] neg_hi:[0,1]
	v_pk_mul_f32 v[94:95], v[86:87], s[10:11]
	v_mov_b32_e32 v98, 0x3f3504f3
	v_fma_f32 v40, v91, 2.0, -v50
	v_sub_f32_e32 v39, v36, v52
	v_pk_add_f32 v[84:85], v[92:93], v[48:49] op_sel:[0,1] neg_lo:[0,1] neg_hi:[0,1]
	v_mov_b32_e32 v52, v94
	v_mov_b32_e32 v61, v86
	v_fma_f32 v115, v108, 2.0, -v64
	v_mov_b32_e32 v107, v64
	v_mul_f32_e32 v88, 0x3f3504f3, v60
	v_pk_add_f32 v[90:91], v[84:85], v[98:99] neg_lo:[0,1] neg_hi:[0,1]
	v_pk_fma_f32 v[64:65], v[86:87], s[10:11], v[50:51]
	v_pk_add_f32 v[52:53], v[40:41], v[52:53] neg_lo:[0,1] neg_hi:[0,1]
	v_pk_fma_f32 v[48:49], v[48:49], 2.0, v[60:61] op_sel_hi:[1,0,1] neg_lo:[0,0,1] neg_hi:[0,0,1]
	v_fma_f32 v47, v36, 2.0, -v39
	v_mov_b32_e32 v65, v53
	v_fma_f32 v84, v41, 2.0, -v53
	v_pk_add_f32 v[96:97], v[56:57], v[88:89]
	v_pk_add_f32 v[52:53], v[56:57], v[88:89] neg_lo:[0,1] neg_hi:[0,1]
	v_fma_f32 v36, v85, 2.0, -v91
	v_pk_mul_f32 v[48:49], v[48:49], s[10:11] op_sel_hi:[1,0]
	v_mul_f32_e32 v106, 0x3f3504f3, v100
	v_add_f32_e32 v43, v57, v57
	v_mov_b32_e32 v95, v91
	v_mov_b32_e32 v97, v53
	v_sub_f32_e32 v91, v84, v36
	v_sub_f32_e32 v36, v40, v49
	;; [unrolled: 1-line block ×3, first 2 shown]
	v_mov_b32_e32 v89, v39
	v_mov_b32_e32 v52, v49
	;; [unrolled: 1-line block ×4, first 2 shown]
	v_add_f32_e32 v92, v48, v36
	v_pk_add_f32 v[86:87], v[88:89], v[64:65]
	v_pk_add_f32 v[88:89], v[96:97], v[94:95] neg_lo:[0,1] neg_hi:[0,1]
	v_pk_add_f32 v[94:95], v[42:43], v[52:53] neg_lo:[0,1] neg_hi:[0,1]
	;; [unrolled: 1-line block ×3, first 2 shown]
	v_mov_b32_e32 v36, v106
	v_pk_add_f32 v[52:53], v[110:111], v[54:55] op_sel:[0,1]
	v_pk_add_f32 v[58:59], v[110:111], v[54:55] op_sel:[0,1] neg_lo:[0,1] neg_hi:[0,1]
	v_mov_b32_e32 v99, v83
	v_pk_add_f32 v[102:103], v[118:119], v[106:107]
	v_pk_add_f32 v[36:37], v[118:119], v[36:37] neg_lo:[0,1] neg_hi:[0,1]
	v_pk_mul_f32 v[60:61], v[52:53], s[10:11]
	v_pk_add_f32 v[98:99], v[58:59], v[98:99] neg_lo:[0,1] neg_hi:[0,1]
	v_mov_b32_e32 v103, v37
	v_mov_b32_e32 v61, v99
	;; [unrolled: 1-line block ×5, first 2 shown]
	s_mov_b32 s20, 0x3f6c835e
	v_mov_b32_e32 v46, 0x3f6c835e
	v_pk_fma_f32 v[54:55], v[62:63], 2.0, v[100:101] op_sel_hi:[1,0,1] neg_lo:[0,0,1] neg_hi:[0,0,1]
	v_pk_add_f32 v[110:111], v[102:103], v[60:61] neg_lo:[0,1] neg_hi:[0,1]
	v_mov_b32_e32 v61, v67
	s_mov_b32 s0, 0x3ec3ef15
	v_pk_mul_f32 v[104:105], v[94:95], s[20:21]
	v_pk_add_f32 v[42:43], v[94:95], v[46:47] neg_lo:[0,1] neg_hi:[0,1]
	s_mov_b32 s1, s10
	v_fma_f32 v108, v44, 2.0, -v118
	v_pk_mul_f32 v[54:55], v[54:55], s[10:11] op_sel_hi:[1,0]
	v_pk_fma_f32 v[116:117], v[52:53], s[10:11], v[112:113]
	v_pk_add_f32 v[52:53], v[34:35], v[60:61] neg_lo:[0,1] neg_hi:[0,1]
	v_mov_b32_e32 v105, v43
	v_pk_mul_f32 v[42:43], v[88:89], s[0:1]
	s_mov_b32 s21, s10
	v_add_f32_e32 v45, v119, v119
	v_sub_f32_e32 v44, v108, v54
	v_mov_b32_e32 v117, v53
	v_fma_f32 v101, v35, 2.0, -v53
	v_sub_f32_e32 v35, v3, v55
	v_mov_b32_e32 v36, v55
	v_mul_f32_e32 v48, 0x3ec3ef15, v92
	v_mul_f32_e32 v114, 0x3ec3ef15, v94
	v_pk_mul_f32 v[46:47], v[86:87], s[20:21]
	v_mul_f32_e32 v42, 0x3f6c835e, v88
	v_fma_f32 v49, v59, 2.0, -v99
	v_add_f32_e32 v100, v54, v35
	v_pk_add_f32 v[112:113], v[106:107], v[116:117]
	v_pk_add_f32 v[106:107], v[44:45], v[36:37] neg_lo:[0,1] neg_hi:[0,1]
	v_pk_add_f32 v[98:99], v[100:101], v[48:49]
	v_pk_add_f32 v[48:49], v[100:101], v[48:49] neg_lo:[0,1] neg_hi:[0,1]
	;; [unrolled: 2-line block ×3, first 2 shown]
	v_pk_add_f32 v[36:37], v[42:43], v[110:111]
	v_mul_f32_e32 v46, 0x3ec3ef15, v86
	v_mul_f32_e32 v90, 0x3f6c835e, v92
	v_mov_b32_e32 v99, v49
	v_mov_b32_e32 v121, v115
	v_pk_fma_f32 v[60:61], v[86:87], s[20:21], v[112:113]
	v_pk_add_f32 v[36:37], v[36:37], v[46:47] neg_lo:[0,1] neg_hi:[0,1]
	s_barrier
	s_and_saveexec_b64 s[10:11], s[2:3]
	s_xor_b64 s[2:3], exec, s[10:11]
; %bb.20:
                                        ; implicit-def: $vgpr3
                                        ; implicit-def: $vgpr40
                                        ; implicit-def: $vgpr38
                                        ; implicit-def: $vgpr84
                                        ; implicit-def: $vgpr92
                                        ; implicit-def: $vgpr86_vgpr87
                                        ; implicit-def: $vgpr94_vgpr95
                                        ; implicit-def: $vgpr108
                                        ; implicit-def: $vgpr110_vgpr111
                                        ; implicit-def: $vgpr101
                                        ; implicit-def: $vgpr112_vgpr113
                                        ; implicit-def: $vgpr106_vgpr107
                                        ; implicit-def: $vgpr114_vgpr115
                                        ; implicit-def: $vgpr50_vgpr51
                                        ; implicit-def: $vgpr56_vgpr57
                                        ; implicit-def: $vgpr118_vgpr119
                                        ; implicit-def: $vgpr116_vgpr117
                                        ; implicit-def: $vgpr102_vgpr103
                                        ; implicit-def: $vgpr96_vgpr97
                                        ; implicit-def: $vgpr64_vgpr65
                                        ; implicit-def: $vgpr34_vgpr35
                                        ; implicit-def: $vgpr82_vgpr83
; %bb.21:
	s_or_saveexec_b64 s[2:3], s[2:3]
	v_mov_b32_e32 v46, v14
	v_mov_b32_e32 v47, v14
	;; [unrolled: 1-line block ×12, first 2 shown]
	v_pk_add_f32 v[58:59], v[104:105], v[98:99]
	v_pk_add_f32 v[62:63], v[120:121], v[90:91] neg_lo:[0,1] neg_hi:[0,1]
	v_pk_fma_f32 v[60:61], v[88:89], s[0:1], v[60:61]
	s_xor_b64 exec, exec, s[2:3]
	s_cbranch_execz .LBB0_23
; %bb.22:
	s_mov_b32 s0, 0x3ec3ef15
	v_mov_b32_e32 v51, v107
	v_mov_b32_e32 v85, v95
	;; [unrolled: 1-line block ×3, first 2 shown]
	s_mov_b32 s1, 0x3f3504f3
	v_mov_b32_e32 v39, v65
	v_mov_b32_e32 v95, v87
	;; [unrolled: 1-line block ×4, first 2 shown]
	v_lshlrev_b32_e32 v102, 3, v82
	v_pk_fma_f32 v[82:83], v[84:85], 2.0, v[104:105] op_sel_hi:[1,0,1] neg_lo:[0,0,1] neg_hi:[0,0,1]
	v_mov_b32_e32 v41, v97
	v_mov_b32_e32 v93, v89
	v_pk_fma_f32 v[38:39], v[38:39], 2.0, v[94:95] op_sel_hi:[1,0,1] neg_lo:[0,0,1] neg_hi:[0,0,1]
	s_mov_b32 s10, 0x3f6c835e
	s_mov_b32 s11, s1
	v_pk_fma_f32 v[84:85], v[108:109], 2.0, v[106:107] op_sel_hi:[1,0,1] neg_lo:[0,0,1] neg_hi:[0,0,1]
	v_fma_f32 v96, v50, 2.0, -v86
	v_pk_fma_f32 v[40:41], v[40:41], 2.0, v[92:93] op_sel_hi:[1,0,1] neg_lo:[0,0,1] neg_hi:[0,0,1]
	v_pk_fma_f32 v[86:87], v[38:39], s[10:11], v[84:85] neg_lo:[1,0,0] neg_hi:[1,0,0]
	v_fma_f32 v57, v56, 2.0, -v88
	v_mov_b32_e32 v50, v101
	v_mov_b32_e32 v120, v99
	v_pk_fma_f32 v[88:89], v[40:41], s[0:1], v[86:87] neg_lo:[1,0,0] neg_hi:[1,0,0]
	v_pk_fma_f32 v[86:87], v[40:41], s[0:1], v[86:87]
	v_fma_f32 v3, v3, 2.0, -v100
	v_pk_fma_f32 v[50:51], v[50:51], 2.0, v[120:121] op_sel_hi:[1,0,1] neg_lo:[0,0,1] neg_hi:[0,0,1]
	v_mov_b32_e32 v89, v87
	v_pk_add_f32 v[82:83], v[50:51], v[82:83] neg_lo:[0,1] neg_hi:[0,1]
	v_pk_fma_f32 v[86:87], v[84:85], 2.0, v[88:89] op_sel_hi:[1,0,1] neg_lo:[0,0,1] neg_hi:[0,0,1]
	v_fmamk_f32 v84, v40, 0xbf6c835e, v3
	v_pk_fma_f32 v[90:91], v[50:51], 2.0, v[82:83] op_sel_hi:[1,0,1] neg_lo:[0,0,1] neg_hi:[0,0,1]
	v_pk_mul_f32 v[50:51], v[40:41], s[0:1]
	v_pk_mul_f32 v[64:65], v[38:39], s[10:11]
	v_fmac_f32_e32 v84, 0x3ec3ef15, v38
	v_mov_b32_e32 v38, v103
	v_mov_b32_e32 v39, v34
	;; [unrolled: 1-line block ×4, first 2 shown]
	v_pk_fma_f32 v[38:39], v[38:39], 2.0, v[34:35] op_sel_hi:[1,0,1] neg_lo:[0,0,1] neg_hi:[0,0,1]
	v_mov_b32_e32 v40, v51
	v_fma_f32 v92, v3, 2.0, -v84
	v_fmamk_f32 v3, v96, 0xbec3ef15, v39
	v_pk_add_f32 v[40:41], v[38:39], v[40:41] neg_lo:[0,1] neg_hi:[0,1]
	v_mov_b32_e32 v50, v65
	v_fma_f32 v98, v118, 2.0, -v110
	v_fmac_f32_e32 v3, 0x3f6c835e, v57
	v_pk_add_f32 v[40:41], v[40:41], v[50:51] neg_lo:[0,1] neg_hi:[0,1]
	v_fmamk_f32 v56, v57, 0xbec3ef15, v98
	v_mov_b32_e32 v41, v3
	v_fmac_f32_e32 v56, 0xbf6c835e, v96
	v_pk_fma_f32 v[38:39], v[38:39], 2.0, v[40:41] op_sel_hi:[1,0,1] neg_lo:[0,0,1] neg_hi:[0,0,1]
	v_mov_b32_e32 v57, v59
	ds_write_b96 v102, v[90:92]
	ds_write2_b32 v102, v86, v87 offset0:3 offset1:4
	ds_write2_b32 v102, v38, v39 offset0:5 offset1:6
	v_pk_fma_f32 v[38:39], v[98:99], 2.0, v[56:57] op_sel_hi:[1,0,1] neg_lo:[0,0,1] neg_hi:[0,0,1]
	ds_write2_b32 v102, v38, v39 offset0:7 offset1:8
	v_mov_b32_e32 v38, v115
	v_mov_b32_e32 v39, v100
	;; [unrolled: 1-line block ×4, first 2 shown]
	v_pk_fma_f32 v[38:39], v[38:39], 2.0, v[50:51] op_sel_hi:[1,0,1] neg_lo:[0,0,1] neg_hi:[0,0,1]
	ds_write2_b32 v102, v38, v39 offset0:9 offset1:10
	v_mov_b32_e32 v38, v62
	v_mov_b32_e32 v39, v61
	v_pk_fma_f32 v[38:39], v[106:107], 2.0, v[38:39] op_sel_hi:[1,0,1] neg_lo:[0,0,1] neg_hi:[0,0,1]
	ds_write2_b32 v102, v38, v39 offset0:11 offset1:12
	v_mov_b32_e32 v38, v37
	v_mov_b32_e32 v39, v60
	v_pk_fma_f32 v[34:35], v[34:35], 2.0, v[38:39] op_sel_hi:[1,0,1] neg_lo:[0,0,1] neg_hi:[0,0,1]
	v_fma_f32 v67, v110, 2.0, -v36
	ds_write2_b32 v102, v34, v35 offset0:13 offset1:14
	ds_write_b96 v102, v[82:84] offset:64
	ds_write2_b32 v102, v88, v89 offset0:19 offset1:20
	ds_write2_b32 v102, v40, v3 offset0:21 offset1:22
	;; [unrolled: 1-line block ×3, first 2 shown]
	v_mov_b32_e32 v38, v59
	v_mov_b32_e32 v39, v63
	;; [unrolled: 1-line block ×4, first 2 shown]
	ds_write_b128 v102, v[38:41] offset:96
	v_mov_b32_e32 v38, v61
	v_mov_b32_e32 v39, v37
	;; [unrolled: 1-line block ×4, first 2 shown]
	ds_write_b128 v102, v[38:41] offset:112
.LBB0_23:
	s_or_b64 exec, exec, s[2:3]
	s_waitcnt lgkmcnt(0)
	s_barrier
	ds_read2st64_b64 v[82:85], v66 offset0:16 offset1:24
	ds_read_b64 v[34:35], v122
	ds_read_b64 v[40:41], v69
	ds_read_b64 v[50:51], v66 offset:40960
	ds_read_b64 v[56:57], v1
	ds_read2st64_b64 v[86:89], v66 offset0:64 offset1:72
	v_mov_b32_e32 v38, v15
	ds_read2st64_b64 v[90:93], v66 offset0:32 offset1:48
	s_waitcnt lgkmcnt(5)
	v_pk_mul_f32 v[64:65], v[14:15], v[34:35] op_sel:[0,1] op_sel_hi:[1,0]
	v_pk_mul_f32 v[38:39], v[38:39], v[34:35] op_sel:[0,1] op_sel_hi:[1,0]
	v_mov_b32_e32 v3, v64
	v_pk_fma_f32 v[38:39], v[14:15], v[34:35], v[38:39]
	v_pk_fma_f32 v[14:15], v[14:15], v[34:35], v[2:3] op_sel:[0,1,0] op_sel_hi:[1,0,1] neg_lo:[1,0,0] neg_hi:[1,0,0]
	s_waitcnt lgkmcnt(1)
	v_pk_mul_f32 v[64:65], v[16:17], v[86:87] op_sel:[0,1] op_sel_hi:[1,0]
	v_mov_b32_e32 v14, v17
	v_pk_mul_f32 v[34:35], v[14:15], v[86:87] op_sel:[0,1] op_sel_hi:[1,0]
	v_mov_b32_e32 v3, v64
	v_pk_fma_f32 v[34:35], v[16:17], v[86:87], v[34:35]
	v_pk_fma_f32 v[16:17], v[16:17], v[86:87], v[2:3] op_sel:[0,1,0] op_sel_hi:[1,0,1] neg_lo:[1,0,0] neg_hi:[1,0,0]
	v_mov_b32_e32 v14, v73
	v_pk_mul_f32 v[86:87], v[72:73], v[40:41] op_sel:[0,1] op_sel_hi:[1,0]
	v_pk_mul_f32 v[64:65], v[14:15], v[40:41] op_sel:[0,1] op_sel_hi:[1,0]
	v_mov_b32_e32 v3, v86
	v_pk_fma_f32 v[64:65], v[72:73], v[40:41], v[64:65]
	v_pk_fma_f32 v[40:41], v[72:73], v[40:41], v[2:3] op_sel:[0,1,0] op_sel_hi:[1,0,1] neg_lo:[1,0,0] neg_hi:[1,0,0]
	v_mov_b32_e32 v35, v17
	v_mov_b32_e32 v39, v15
	;; [unrolled: 1-line block ×3, first 2 shown]
	v_pk_add_f32 v[16:17], v[82:83], v[34:35] neg_lo:[0,1] neg_hi:[0,1]
	v_pk_add_f32 v[64:65], v[38:39], v[64:65] neg_lo:[0,1] neg_hi:[0,1]
	v_pk_fma_f32 v[34:35], v[82:83], 2.0, v[16:17] op_sel_hi:[1,0,1] neg_lo:[0,0,1] neg_hi:[0,0,1]
	v_pk_fma_f32 v[14:15], v[38:39], 2.0, v[64:65] op_sel_hi:[1,0,1] neg_lo:[0,0,1] neg_hi:[0,0,1]
	v_pk_add_f32 v[40:41], v[16:17], v[64:65] op_sel:[0,1] op_sel_hi:[1,0]
	v_pk_add_f32 v[38:39], v[34:35], v[14:15] neg_lo:[0,1] neg_hi:[0,1]
	ds_read2st64_b64 v[94:97], v66 offset1:8
	v_pk_fma_f32 v[14:15], v[34:35], 2.0, v[38:39] op_sel_hi:[1,0,1] neg_lo:[0,0,1] neg_hi:[0,0,1]
	v_pk_add_f32 v[34:35], v[16:17], v[64:65] op_sel:[0,1] op_sel_hi:[1,0] neg_lo:[0,1] neg_hi:[0,1]
	s_waitcnt lgkmcnt(0)
	v_mov_b32_e32 v41, v35
	v_pk_mul_f32 v[34:35], v[54:55], v[90:91]
	v_pk_mul_f32 v[54:55], v[54:55], v[84:85]
	v_pk_fma_f32 v[64:65], v[46:47], v[90:91], v[34:35] op_sel:[0,0,1] op_sel_hi:[1,1,0]
	v_pk_fma_f32 v[34:35], v[46:47], v[90:91], v[34:35] op_sel:[0,0,1] op_sel_hi:[1,1,0] neg_lo:[0,0,1] neg_hi:[0,0,1]
	s_barrier
	v_mov_b32_e32 v65, v35
	v_pk_mul_f32 v[34:35], v[52:53], v[56:57]
	s_nop 0
	v_pk_fma_f32 v[72:73], v[44:45], v[56:57], v[34:35] op_sel:[0,0,1] op_sel_hi:[1,1,0]
	v_pk_fma_f32 v[34:35], v[44:45], v[56:57], v[34:35] op_sel:[0,0,1] op_sel_hi:[1,1,0] neg_lo:[0,0,1] neg_hi:[0,0,1]
	v_pk_fma_f32 v[16:17], v[16:17], 2.0, v[40:41] op_sel_hi:[1,0,1] neg_lo:[0,0,1] neg_hi:[0,0,1]
	v_mov_b32_e32 v73, v35
	v_pk_mul_f32 v[34:35], v[48:49], v[50:51]
	s_nop 0
	v_pk_fma_f32 v[56:57], v[42:43], v[50:51], v[34:35] op_sel:[0,0,1] op_sel_hi:[1,1,0]
	v_pk_fma_f32 v[34:35], v[42:43], v[50:51], v[34:35] op_sel:[0,0,1] op_sel_hi:[1,1,0] neg_lo:[0,0,1] neg_hi:[0,0,1]
	s_nop 0
	v_mov_b32_e32 v57, v35
	v_pk_add_f32 v[34:35], v[96:97], v[72:73] neg_lo:[0,1] neg_hi:[0,1]
	v_pk_fma_f32 v[72:73], v[46:47], v[84:85], v[54:55] op_sel:[0,0,1] op_sel_hi:[1,1,0]
	v_pk_fma_f32 v[46:47], v[46:47], v[84:85], v[54:55] op_sel:[0,0,1] op_sel_hi:[1,1,0] neg_lo:[0,0,1] neg_hi:[0,0,1]
	v_pk_add_f32 v[56:57], v[64:65], v[56:57] neg_lo:[0,1] neg_hi:[0,1]
	v_mov_b32_e32 v73, v47
	v_pk_mul_f32 v[46:47], v[52:53], v[92:93]
	v_pk_fma_f32 v[50:51], v[96:97], 2.0, v[34:35] op_sel_hi:[1,0,1] neg_lo:[0,0,1] neg_hi:[0,0,1]
	v_pk_fma_f32 v[52:53], v[44:45], v[92:93], v[46:47] op_sel:[0,0,1] op_sel_hi:[1,1,0]
	v_pk_fma_f32 v[44:45], v[44:45], v[92:93], v[46:47] op_sel:[0,0,1] op_sel_hi:[1,1,0] neg_lo:[0,0,1] neg_hi:[0,0,1]
	v_pk_fma_f32 v[64:65], v[64:65], 2.0, v[56:57] op_sel_hi:[1,0,1] neg_lo:[0,0,1] neg_hi:[0,0,1]
	v_mov_b32_e32 v53, v45
	v_pk_mul_f32 v[44:45], v[48:49], v[88:89]
	v_pk_add_f32 v[64:65], v[50:51], v[64:65] neg_lo:[0,1] neg_hi:[0,1]
	v_pk_fma_f32 v[46:47], v[42:43], v[88:89], v[44:45] op_sel:[0,0,1] op_sel_hi:[1,1,0]
	v_pk_fma_f32 v[42:43], v[42:43], v[88:89], v[44:45] op_sel:[0,0,1] op_sel_hi:[1,1,0] neg_lo:[0,0,1] neg_hi:[0,0,1]
	v_pk_fma_f32 v[50:51], v[50:51], 2.0, v[64:65] op_sel_hi:[1,0,1] neg_lo:[0,0,1] neg_hi:[0,0,1]
	v_mov_b32_e32 v47, v43
	v_pk_add_f32 v[42:43], v[94:95], v[52:53] neg_lo:[0,1] neg_hi:[0,1]
	v_pk_add_f32 v[46:47], v[72:73], v[46:47] neg_lo:[0,1] neg_hi:[0,1]
	v_pk_fma_f32 v[44:45], v[94:95], 2.0, v[42:43] op_sel_hi:[1,0,1] neg_lo:[0,0,1] neg_hi:[0,0,1]
	v_pk_fma_f32 v[48:49], v[72:73], 2.0, v[46:47] op_sel_hi:[1,0,1] neg_lo:[0,0,1] neg_hi:[0,0,1]
	v_pk_add_f32 v[52:53], v[42:43], v[46:47] op_sel:[0,1] op_sel_hi:[1,0]
	v_pk_add_f32 v[46:47], v[42:43], v[46:47] op_sel:[0,1] op_sel_hi:[1,0] neg_lo:[0,1] neg_hi:[0,1]
	v_pk_add_f32 v[48:49], v[44:45], v[48:49] neg_lo:[0,1] neg_hi:[0,1]
	v_mov_b32_e32 v53, v47
	v_pk_fma_f32 v[44:45], v[44:45], 2.0, v[48:49] op_sel_hi:[1,0,1] neg_lo:[0,0,1] neg_hi:[0,0,1]
	v_pk_fma_f32 v[42:43], v[42:43], 2.0, v[52:53] op_sel_hi:[1,0,1] neg_lo:[0,0,1] neg_hi:[0,0,1]
	ds_write2_b64 v75, v[44:45], v[42:43] offset1:16
	ds_write2_b64 v75, v[48:49], v[52:53] offset0:32 offset1:48
	v_pk_add_f32 v[42:43], v[34:35], v[56:57] op_sel:[0,1] op_sel_hi:[1,0]
	v_pk_add_f32 v[44:45], v[34:35], v[56:57] op_sel:[0,1] op_sel_hi:[1,0] neg_lo:[0,1] neg_hi:[0,1]
	s_nop 0
	v_mov_b32_e32 v43, v45
	v_pk_fma_f32 v[34:35], v[34:35], 2.0, v[42:43] op_sel_hi:[1,0,1] neg_lo:[0,0,1] neg_hi:[0,0,1]
	ds_write2_b64 v125, v[50:51], v[34:35] offset1:16
	ds_write2_b64 v125, v[64:65], v[42:43] offset0:32 offset1:48
	ds_write2_b64 v126, v[14:15], v[16:17] offset1:16
	ds_write2_b64 v126, v[38:39], v[40:41] offset0:32 offset1:48
	s_waitcnt lgkmcnt(0)
	s_barrier
	ds_read2st64_b64 v[42:45], v66 offset1:12
	ds_read2st64_b64 v[54:57], v66 offset0:24 offset1:36
	ds_read2st64_b64 v[50:53], v66 offset0:48 offset1:60
	;; [unrolled: 1-line block ×3, first 2 shown]
	s_and_saveexec_b64 s[0:1], s[6:7]
	s_xor_b64 s[0:1], exec, s[0:1]
	s_or_saveexec_b64 s[0:1], s[0:1]
	v_mov_b32_e32 v94, v6
	v_mov_b32_e32 v95, v6
	;; [unrolled: 1-line block ×26, first 2 shown]
	s_xor_b64 exec, exec, s[0:1]
	s_cbranch_execz .LBB0_25
; %bb.24:
	ds_read_b64 v[64:65], v66 offset:47104
	ds_read2st64_b64 v[34:37], v66 offset0:68 offset1:80
	ds_read_b64 v[62:63], v1
	ds_read2st64_b64 v[14:17], v66 offset0:8 offset1:20
	ds_read2st64_b64 v[38:41], v66 offset0:32 offset1:44
	s_waitcnt lgkmcnt(4)
	v_mov_b32_e32 v60, v64
	s_waitcnt lgkmcnt(3)
	v_mov_b32_e32 v61, v36
	v_mov_b32_e32 v58, v34
	s_waitcnt lgkmcnt(2)
	v_mov_b32_e32 v59, v62
	v_mov_b32_e32 v36, v65
	;; [unrolled: 1-line block ×3, first 2 shown]
.LBB0_25:
	s_or_b64 exec, exec, s[0:1]
	s_waitcnt lgkmcnt(3)
	v_pk_mul_f32 v[102:103], v[102:103], v[44:45]
	s_mov_b32 s0, 0x3f3504f3
	v_pk_fma_f32 v[104:105], v[94:95], v[44:45], v[102:103] op_sel:[0,0,1] op_sel_hi:[1,1,0]
	v_pk_fma_f32 v[44:45], v[94:95], v[44:45], v[102:103] op_sel:[0,0,1] op_sel_hi:[1,1,0] neg_lo:[0,0,1] neg_hi:[0,0,1]
	s_waitcnt lgkmcnt(0)
	v_mov_b32_e32 v105, v45
	v_pk_mul_f32 v[44:45], v[100:101], v[54:55]
	s_barrier
	v_pk_fma_f32 v[94:95], v[92:93], v[54:55], v[44:45] op_sel:[0,0,1] op_sel_hi:[1,1,0]
	v_pk_fma_f32 v[44:45], v[92:93], v[54:55], v[44:45] op_sel:[0,0,1] op_sel_hi:[1,1,0] neg_lo:[0,0,1] neg_hi:[0,0,1]
	s_nop 0
	v_mov_b32_e32 v95, v45
	v_pk_mul_f32 v[44:45], v[98:99], v[56:57]
	v_mov_b32_e32 v64, v18
	v_pk_fma_f32 v[54:55], v[88:89], v[56:57], v[44:45] op_sel:[0,0,1] op_sel_hi:[1,1,0]
	v_pk_fma_f32 v[44:45], v[88:89], v[56:57], v[44:45] op_sel:[0,0,1] op_sel_hi:[1,1,0] neg_lo:[0,0,1] neg_hi:[0,0,1]
	v_mov_b32_e32 v65, v18
	v_mov_b32_e32 v55, v45
	v_pk_mul_f32 v[44:45], v[96:97], v[50:51]
	v_mov_b32_e32 v18, v19
	v_pk_fma_f32 v[56:57], v[84:85], v[50:51], v[44:45] op_sel:[0,0,1] op_sel_hi:[1,1,0]
	v_pk_fma_f32 v[44:45], v[84:85], v[50:51], v[44:45] op_sel:[0,0,1] op_sel_hi:[1,1,0] neg_lo:[0,0,1] neg_hi:[0,0,1]
	v_mov_b32_e32 v34, v20
	;; [unrolled: 6-line block ×3, first 2 shown]
	v_mov_b32_e32 v51, v45
	v_pk_mul_f32 v[44:45], v[90:91], v[46:47]
	v_pk_add_f32 v[50:51], v[104:105], v[50:51] neg_lo:[0,1] neg_hi:[0,1]
	v_pk_fma_f32 v[52:53], v[82:83], v[46:47], v[44:45] op_sel:[0,0,1] op_sel_hi:[1,1,0]
	v_pk_fma_f32 v[44:45], v[82:83], v[46:47], v[44:45] op_sel:[0,0,1] op_sel_hi:[1,1,0] neg_lo:[0,0,1] neg_hi:[0,0,1]
	s_nop 0
	v_mov_b32_e32 v53, v45
	v_pk_mul_f32 v[44:45], v[86:87], v[48:49]
	s_nop 0
	v_pk_fma_f32 v[46:47], v[72:73], v[48:49], v[44:45] op_sel:[0,0,1] op_sel_hi:[1,1,0]
	v_pk_fma_f32 v[44:45], v[72:73], v[48:49], v[44:45] op_sel:[0,0,1] op_sel_hi:[1,1,0] neg_lo:[0,0,1] neg_hi:[0,0,1]
	v_pk_add_f32 v[48:49], v[94:95], v[52:53] neg_lo:[0,1] neg_hi:[0,1]
	v_mov_b32_e32 v47, v45
	v_pk_add_f32 v[44:45], v[42:43], v[56:57] neg_lo:[0,1] neg_hi:[0,1]
	v_pk_fma_f32 v[52:53], v[94:95], 2.0, v[48:49] op_sel_hi:[1,0,1] neg_lo:[0,0,1] neg_hi:[0,0,1]
	v_pk_add_f32 v[46:47], v[54:55], v[46:47] neg_lo:[0,1] neg_hi:[0,1]
	v_pk_add_f32 v[72:73], v[44:45], v[48:49] op_sel:[0,1] op_sel_hi:[1,0]
	v_pk_add_f32 v[48:49], v[44:45], v[48:49] op_sel:[0,1] op_sel_hi:[1,0] neg_lo:[0,1] neg_hi:[0,1]
	v_pk_fma_f32 v[54:55], v[54:55], 2.0, v[46:47] op_sel_hi:[1,0,1] neg_lo:[0,0,1] neg_hi:[0,0,1]
	v_mov_b32_e32 v73, v49
	v_pk_add_f32 v[48:49], v[50:51], v[46:47] op_sel:[0,1] op_sel_hi:[1,0]
	v_pk_add_f32 v[46:47], v[50:51], v[46:47] op_sel:[0,1] op_sel_hi:[1,0] neg_lo:[0,1] neg_hi:[0,1]
	v_pk_fma_f32 v[42:43], v[42:43], 2.0, v[44:45] op_sel_hi:[1,0,1] neg_lo:[0,0,1] neg_hi:[0,0,1]
	v_mov_b32_e32 v49, v47
	v_pk_fma_f32 v[56:57], v[104:105], 2.0, v[50:51] op_sel_hi:[1,0,1] neg_lo:[0,0,1] neg_hi:[0,0,1]
	v_pk_fma_f32 v[44:45], v[44:45], 2.0, v[72:73] op_sel_hi:[1,0,1] neg_lo:[0,0,1] neg_hi:[0,0,1]
	;; [unrolled: 1-line block ×3, first 2 shown]
	v_pk_add_f32 v[52:53], v[42:43], v[52:53] neg_lo:[0,1] neg_hi:[0,1]
	v_pk_add_f32 v[54:55], v[56:57], v[54:55] neg_lo:[0,1] neg_hi:[0,1]
	v_pk_mul_f32 v[50:51], v[46:47], s[0:1] op_sel_hi:[1,0]
	v_pk_fma_f32 v[46:47], v[46:47], s[0:1], v[44:45] op_sel_hi:[1,0,1] neg_lo:[1,0,0] neg_hi:[1,0,0]
	v_pk_fma_f32 v[42:43], v[42:43], 2.0, v[52:53] op_sel_hi:[1,0,1] neg_lo:[0,0,1] neg_hi:[0,0,1]
	v_pk_fma_f32 v[56:57], v[56:57], 2.0, v[54:55] op_sel_hi:[1,0,1] neg_lo:[0,0,1] neg_hi:[0,0,1]
	v_pk_add_f32 v[82:83], v[46:47], v[50:51] op_sel:[0,1] op_sel_hi:[1,0]
	v_pk_add_f32 v[46:47], v[46:47], v[50:51] op_sel:[0,1] op_sel_hi:[1,0] neg_lo:[0,1] neg_hi:[0,1]
	v_pk_add_f32 v[56:57], v[42:43], v[56:57] neg_lo:[0,1] neg_hi:[0,1]
	v_mov_b32_e32 v83, v47
	v_pk_fma_f32 v[42:43], v[42:43], 2.0, v[56:57] op_sel_hi:[1,0,1] neg_lo:[0,0,1] neg_hi:[0,0,1]
	v_pk_fma_f32 v[44:45], v[44:45], 2.0, v[82:83] op_sel_hi:[1,0,1] neg_lo:[0,0,1] neg_hi:[0,0,1]
	v_pk_mul_f32 v[46:47], v[48:49], s[0:1] op_sel_hi:[1,0]
	v_pk_fma_f32 v[48:49], v[48:49], s[0:1], v[72:73] op_sel_hi:[1,0,1]
	ds_write2st64_b64 v127, v[42:43], v[44:45] offset1:1
	v_pk_add_f32 v[42:43], v[52:53], v[54:55] op_sel:[0,1] op_sel_hi:[1,0]
	v_pk_add_f32 v[44:45], v[52:53], v[54:55] op_sel:[0,1] op_sel_hi:[1,0] neg_lo:[0,1] neg_hi:[0,1]
	v_pk_add_f32 v[50:51], v[48:49], v[46:47] op_sel:[0,1] op_sel_hi:[1,0]
	v_pk_add_f32 v[46:47], v[48:49], v[46:47] op_sel:[0,1] op_sel_hi:[1,0] neg_lo:[0,1] neg_hi:[0,1]
	v_mov_b32_e32 v43, v45
	v_mov_b32_e32 v51, v47
	v_pk_fma_f32 v[44:45], v[52:53], 2.0, v[42:43] op_sel_hi:[1,0,1] neg_lo:[0,0,1] neg_hi:[0,0,1]
	v_pk_fma_f32 v[46:47], v[72:73], 2.0, v[50:51] op_sel_hi:[1,0,1] neg_lo:[0,0,1] neg_hi:[0,0,1]
	ds_write2st64_b64 v127, v[44:45], v[46:47] offset0:2 offset1:3
	ds_write2st64_b64 v127, v[56:57], v[82:83] offset0:4 offset1:5
	;; [unrolled: 1-line block ×3, first 2 shown]
	s_and_saveexec_b64 s[2:3], s[4:5]
	s_cbranch_execz .LBB0_27
; %bb.26:
	v_pk_mul_f32 v[44:45], v[8:9], v[38:39] op_sel:[0,1]
	v_pk_mul_f32 v[46:47], v[4:5], v[36:37] op_sel:[0,1]
	v_pk_fma_f32 v[54:55], v[8:9], v[38:39], v[44:45] op_sel:[0,0,1] op_sel_hi:[1,1,0]
	v_pk_fma_f32 v[8:9], v[8:9], v[38:39], v[44:45] op_sel:[0,0,1] op_sel_hi:[1,0,0] neg_lo:[1,0,0] neg_hi:[1,0,0]
	s_movk_i32 s1, 0x1e00
	v_mov_b32_e32 v55, v9
	v_pk_fma_f32 v[8:9], v[4:5], v[60:61], v[46:47] op_sel:[0,1,1] op_sel_hi:[1,1,0]
	v_pk_fma_f32 v[4:5], v[4:5], v[60:61], v[46:47] op_sel:[0,1,1] op_sel_hi:[1,1,0] neg_lo:[1,0,0] neg_hi:[1,0,0]
	v_pk_mul_f32 v[42:43], v[12:13], v[62:63] op_sel:[0,1]
	v_mov_b32_e32 v52, v41
	v_and_or_b32 v41, v130, s1, v123
	v_mov_b32_e32 v9, v5
	v_pk_mul_f32 v[52:53], v[10:11], v[52:53] op_sel_hi:[1,0]
	v_lshlrev_b32_e32 v41, 3, v41
	v_pk_add_f32 v[4:5], v[54:55], v[8:9] neg_lo:[0,1] neg_hi:[0,1]
	v_pk_fma_f32 v[8:9], v[12:13], v[58:59], v[42:43] op_sel:[0,1,1] op_sel_hi:[1,1,0]
	v_pk_fma_f32 v[12:13], v[12:13], v[58:59], v[42:43] op_sel:[0,1,1] op_sel_hi:[1,1,0] neg_lo:[1,0,0] neg_hi:[1,0,0]
	v_pk_mul_f32 v[36:37], v[70:71], v[36:37] op_sel_hi:[1,0]
	v_mov_b32_e32 v9, v13
	v_pk_fma_f32 v[12:13], v[10:11], v[40:41], v[52:53] op_sel:[0,0,1] op_sel_hi:[1,1,0]
	v_pk_fma_f32 v[10:11], v[10:11], v[40:41], v[52:53] op_sel:[0,0,1] op_sel_hi:[1,0,0] neg_lo:[1,0,0] neg_hi:[1,0,0]
	v_mov_b32_e32 v3, v74
	v_pk_mul_f32 v[48:49], v[6:7], v[16:17] op_sel:[0,1]
	v_mov_b32_e32 v13, v11
	v_pk_fma_f32 v[10:11], v[70:71], v[60:61], v[36:37] op_sel:[0,0,1] op_sel_hi:[1,1,0]
	v_pk_fma_f32 v[36:37], v[70:71], v[60:61], v[36:37] op_sel:[0,0,1] op_sel_hi:[1,0,0] neg_lo:[1,0,0] neg_hi:[1,0,0]
	v_pk_mul_f32 v[50:51], v[2:3], v[62:63] op_sel_hi:[1,0]
	v_mov_b32_e32 v11, v37
	v_pk_fma_f32 v[36:37], v[6:7], v[16:17], v[48:49] op_sel:[0,0,1] op_sel_hi:[1,1,0]
	v_pk_fma_f32 v[6:7], v[6:7], v[16:17], v[48:49] op_sel:[0,0,1] op_sel_hi:[1,0,0] neg_lo:[1,0,0] neg_hi:[1,0,0]
	v_pk_add_f32 v[8:9], v[14:15], v[8:9] neg_lo:[0,1] neg_hi:[0,1]
	v_mov_b32_e32 v37, v7
	v_pk_fma_f32 v[6:7], v[2:3], v[58:59], v[50:51] op_sel:[0,0,1] op_sel_hi:[1,1,0]
	v_pk_fma_f32 v[2:3], v[2:3], v[58:59], v[50:51] op_sel:[0,0,1] op_sel_hi:[1,0,0] neg_lo:[1,0,0] neg_hi:[1,0,0]
	v_pk_add_f32 v[10:11], v[12:13], v[10:11] neg_lo:[0,1] neg_hi:[0,1]
	v_mov_b32_e32 v7, v3
	v_pk_add_f32 v[2:3], v[36:37], v[6:7] neg_lo:[0,1] neg_hi:[0,1]
	v_pk_fma_f32 v[6:7], v[14:15], 2.0, v[8:9] op_sel_hi:[1,0,1] neg_lo:[0,0,1] neg_hi:[0,0,1]
	v_pk_fma_f32 v[14:15], v[54:55], 2.0, v[4:5] op_sel_hi:[1,0,1] neg_lo:[0,0,1] neg_hi:[0,0,1]
	;; [unrolled: 1-line block ×3, first 2 shown]
	v_pk_add_f32 v[36:37], v[8:9], v[4:5] op_sel:[0,1] op_sel_hi:[1,0]
	v_pk_add_f32 v[4:5], v[8:9], v[4:5] op_sel:[0,1] op_sel_hi:[1,0] neg_lo:[0,1] neg_hi:[0,1]
	v_pk_fma_f32 v[12:13], v[12:13], 2.0, v[10:11] op_sel_hi:[1,0,1] neg_lo:[0,0,1] neg_hi:[0,0,1]
	v_mov_b32_e32 v37, v5
	v_pk_add_f32 v[4:5], v[2:3], v[10:11] op_sel:[0,1] op_sel_hi:[1,0]
	v_pk_add_f32 v[10:11], v[2:3], v[10:11] op_sel:[0,1] op_sel_hi:[1,0] neg_lo:[0,1] neg_hi:[0,1]
	v_pk_fma_f32 v[8:9], v[8:9], 2.0, v[36:37] op_sel_hi:[1,0,1] neg_lo:[0,0,1] neg_hi:[0,0,1]
	v_mov_b32_e32 v5, v11
	v_pk_fma_f32 v[2:3], v[2:3], 2.0, v[4:5] op_sel_hi:[1,0,1] neg_lo:[0,0,1] neg_hi:[0,0,1]
	v_pk_add_f32 v[14:15], v[6:7], v[14:15] neg_lo:[0,1] neg_hi:[0,1]
	v_pk_add_f32 v[12:13], v[16:17], v[12:13] neg_lo:[0,1] neg_hi:[0,1]
	v_pk_mul_f32 v[10:11], v[2:3], s[0:1] op_sel_hi:[1,0]
	v_pk_fma_f32 v[2:3], v[2:3], s[0:1], v[8:9] op_sel_hi:[1,0,1] neg_lo:[1,0,0] neg_hi:[1,0,0]
	v_pk_fma_f32 v[6:7], v[6:7], 2.0, v[14:15] op_sel_hi:[1,0,1] neg_lo:[0,0,1] neg_hi:[0,0,1]
	v_pk_fma_f32 v[16:17], v[16:17], 2.0, v[12:13] op_sel_hi:[1,0,1] neg_lo:[0,0,1] neg_hi:[0,0,1]
	v_pk_add_f32 v[38:39], v[2:3], v[10:11] op_sel:[0,1] op_sel_hi:[1,0]
	v_pk_add_f32 v[2:3], v[2:3], v[10:11] op_sel:[0,1] op_sel_hi:[1,0] neg_lo:[0,1] neg_hi:[0,1]
	v_pk_add_f32 v[16:17], v[6:7], v[16:17] neg_lo:[0,1] neg_hi:[0,1]
	v_mov_b32_e32 v39, v3
	v_pk_fma_f32 v[6:7], v[6:7], 2.0, v[16:17] op_sel_hi:[1,0,1] neg_lo:[0,0,1] neg_hi:[0,0,1]
	v_pk_fma_f32 v[2:3], v[8:9], 2.0, v[38:39] op_sel_hi:[1,0,1] neg_lo:[0,0,1] neg_hi:[0,0,1]
	v_pk_mul_f32 v[8:9], v[4:5], s[0:1] op_sel_hi:[1,0]
	v_pk_fma_f32 v[4:5], v[4:5], s[0:1], v[36:37] op_sel_hi:[1,0,1]
	ds_write2st64_b64 v41, v[6:7], v[2:3] offset1:1
	v_pk_add_f32 v[2:3], v[14:15], v[12:13] op_sel:[0,1] op_sel_hi:[1,0]
	v_pk_add_f32 v[6:7], v[14:15], v[12:13] op_sel:[0,1] op_sel_hi:[1,0] neg_lo:[0,1] neg_hi:[0,1]
	v_pk_add_f32 v[10:11], v[4:5], v[8:9] op_sel:[0,1] op_sel_hi:[1,0]
	v_pk_add_f32 v[4:5], v[4:5], v[8:9] op_sel:[0,1] op_sel_hi:[1,0] neg_lo:[0,1] neg_hi:[0,1]
	v_mov_b32_e32 v3, v7
	v_mov_b32_e32 v11, v5
	v_pk_fma_f32 v[6:7], v[14:15], 2.0, v[2:3] op_sel_hi:[1,0,1] neg_lo:[0,0,1] neg_hi:[0,0,1]
	v_pk_fma_f32 v[4:5], v[36:37], 2.0, v[10:11] op_sel_hi:[1,0,1] neg_lo:[0,0,1] neg_hi:[0,0,1]
	ds_write2st64_b64 v41, v[6:7], v[4:5] offset0:2 offset1:3
	ds_write2st64_b64 v41, v[16:17], v[38:39] offset0:4 offset1:5
	;; [unrolled: 1-line block ×3, first 2 shown]
.LBB0_27:
	s_or_b64 exec, exec, s[2:3]
	s_waitcnt lgkmcnt(0)
	s_barrier
	ds_read_b64 v[6:7], v1
	ds_read2st64_b64 v[2:5], v66 offset0:16 offset1:24
	ds_read_b64 v[36:37], v66 offset:40960
	ds_read_b64 v[8:9], v69
	ds_read_b64 v[38:39], v122
	s_waitcnt lgkmcnt(4)
	v_pk_mul_f32 v[10:11], v[18:19], v[6:7]
	s_mov_b32 s0, 0x3f5db3d7
	v_pk_fma_f32 v[40:41], v[64:65], v[6:7], v[10:11] op_sel:[0,0,1] op_sel_hi:[1,1,0]
	v_pk_fma_f32 v[6:7], v[64:65], v[6:7], v[10:11] op_sel:[0,0,1] op_sel_hi:[1,1,0] neg_lo:[0,0,1] neg_hi:[0,0,1]
	s_nop 0
	v_mov_b32_e32 v41, v7
	s_waitcnt lgkmcnt(1)
	v_pk_mul_f32 v[6:7], v[20:21], v[8:9]
	s_nop 0
	v_pk_fma_f32 v[42:43], v[34:35], v[8:9], v[6:7] op_sel:[0,0,1] op_sel_hi:[1,1,0]
	v_pk_fma_f32 v[6:7], v[34:35], v[8:9], v[6:7] op_sel:[0,0,1] op_sel_hi:[1,1,0] neg_lo:[0,0,1] neg_hi:[0,0,1]
	s_nop 0
	v_mov_b32_e32 v43, v7
	v_pk_add_f32 v[6:7], v[40:41], v[42:43]
	s_nop 0
	v_pk_fma_f32 v[10:11], v[6:7], 0.5, v[4:5] op_sel_hi:[1,0,1] neg_lo:[1,0,0] neg_hi:[1,0,0]
	v_pk_add_f32 v[6:7], v[40:41], v[42:43] neg_lo:[0,1] neg_hi:[0,1]
	s_nop 0
	v_pk_mul_f32 v[12:13], v[6:7], s[0:1] op_sel_hi:[1,0]
	ds_read2st64_b64 v[6:9], v66 offset0:32 offset1:48
	v_pk_add_f32 v[44:45], v[10:11], v[12:13] op_sel:[0,1] op_sel_hi:[1,0]
	v_pk_add_f32 v[46:47], v[10:11], v[12:13] op_sel:[0,1] op_sel_hi:[1,0] neg_lo:[0,1] neg_hi:[0,1]
	ds_read2st64_b64 v[10:13], v66 offset1:8
	ds_read2st64_b64 v[14:17], v66 offset0:64 offset1:72
	s_waitcnt lgkmcnt(0)
	v_pk_mul_f32 v[48:49], v[18:19], v[6:7]
	s_barrier
	v_pk_fma_f32 v[50:51], v[64:65], v[6:7], v[48:49] op_sel:[0,0,1] op_sel_hi:[1,1,0]
	v_pk_fma_f32 v[6:7], v[64:65], v[6:7], v[48:49] op_sel:[0,0,1] op_sel_hi:[1,1,0] neg_lo:[0,0,1] neg_hi:[0,0,1]
	s_nop 0
	v_mov_b32_e32 v51, v7
	v_pk_mul_f32 v[6:7], v[20:21], v[14:15]
	s_nop 0
	v_pk_fma_f32 v[48:49], v[34:35], v[14:15], v[6:7] op_sel:[0,0,1] op_sel_hi:[1,1,0]
	v_pk_fma_f32 v[6:7], v[34:35], v[14:15], v[6:7] op_sel:[0,0,1] op_sel_hi:[1,1,0] neg_lo:[0,0,1] neg_hi:[0,0,1]
	s_nop 0
	v_mov_b32_e32 v49, v7
	v_pk_add_f32 v[14:15], v[50:51], v[48:49]
	v_pk_add_f32 v[6:7], v[10:11], v[50:51]
	v_pk_fma_f32 v[10:11], v[14:15], 0.5, v[10:11] op_sel_hi:[1,0,1] neg_lo:[1,0,0] neg_hi:[1,0,0]
	v_pk_add_f32 v[14:15], v[50:51], v[48:49] neg_lo:[0,1] neg_hi:[0,1]
	v_pk_add_f32 v[6:7], v[6:7], v[48:49]
	v_pk_mul_f32 v[14:15], v[14:15], s[0:1] op_sel_hi:[1,0]
	s_nop 0
	v_pk_add_f32 v[48:49], v[10:11], v[14:15] op_sel:[0,1] op_sel_hi:[1,0] neg_lo:[0,1] neg_hi:[0,1]
	v_pk_add_f32 v[10:11], v[10:11], v[14:15] op_sel:[0,1] op_sel_hi:[1,0]
	v_pk_mul_f32 v[14:15], v[18:19], v[38:39]
	s_nop 0
	v_pk_fma_f32 v[50:51], v[64:65], v[38:39], v[14:15] op_sel:[0,0,1] op_sel_hi:[1,1,0]
	v_pk_fma_f32 v[14:15], v[64:65], v[38:39], v[14:15] op_sel:[0,0,1] op_sel_hi:[1,1,0] neg_lo:[0,0,1] neg_hi:[0,0,1]
	s_nop 0
	v_mov_b32_e32 v51, v15
	v_pk_mul_f32 v[14:15], v[20:21], v[16:17]
	s_nop 0
	v_pk_fma_f32 v[38:39], v[34:35], v[16:17], v[14:15] op_sel:[0,0,1] op_sel_hi:[1,1,0]
	v_pk_fma_f32 v[14:15], v[34:35], v[16:17], v[14:15] op_sel:[0,0,1] op_sel_hi:[1,1,0] neg_lo:[0,0,1] neg_hi:[0,0,1]
	s_nop 0
	v_mov_b32_e32 v39, v15
	v_pk_add_f32 v[16:17], v[50:51], v[38:39]
	v_pk_add_f32 v[14:15], v[12:13], v[50:51]
	v_pk_fma_f32 v[12:13], v[16:17], 0.5, v[12:13] op_sel_hi:[1,0,1] neg_lo:[1,0,0] neg_hi:[1,0,0]
	v_pk_add_f32 v[16:17], v[50:51], v[38:39] neg_lo:[0,1] neg_hi:[0,1]
	v_pk_add_f32 v[14:15], v[14:15], v[38:39]
	v_pk_mul_f32 v[16:17], v[16:17], s[0:1] op_sel_hi:[1,0]
	s_nop 0
	v_pk_add_f32 v[38:39], v[12:13], v[16:17] op_sel:[0,1] op_sel_hi:[1,0] neg_lo:[0,1] neg_hi:[0,1]
	v_pk_add_f32 v[12:13], v[12:13], v[16:17] op_sel:[0,1] op_sel_hi:[1,0]
	v_pk_mul_f32 v[16:17], v[18:19], v[8:9]
	s_nop 0
	v_pk_fma_f32 v[18:19], v[64:65], v[8:9], v[16:17] op_sel:[0,0,1] op_sel_hi:[1,1,0]
	v_pk_fma_f32 v[8:9], v[64:65], v[8:9], v[16:17] op_sel:[0,0,1] op_sel_hi:[1,1,0] neg_lo:[0,0,1] neg_hi:[0,0,1]
	s_nop 0
	v_mov_b32_e32 v19, v9
	v_pk_mul_f32 v[8:9], v[20:21], v[36:37]
	v_mov_b32_e32 v20, v48
	v_pk_fma_f32 v[16:17], v[34:35], v[36:37], v[8:9] op_sel:[0,0,1] op_sel_hi:[1,1,0]
	v_pk_fma_f32 v[8:9], v[34:35], v[36:37], v[8:9] op_sel:[0,0,1] op_sel_hi:[1,1,0] neg_lo:[0,0,1] neg_hi:[0,0,1]
	v_mov_b32_e32 v21, v11
	v_mov_b32_e32 v17, v9
	v_pk_add_f32 v[8:9], v[2:3], v[18:19]
	ds_write2st64_b64 v66, v[6:7], v[20:21] offset1:8
	v_mov_b32_e32 v11, v49
	v_mov_b32_e32 v6, v38
	;; [unrolled: 1-line block ×4, first 2 shown]
	v_pk_add_f32 v[8:9], v[8:9], v[16:17]
	ds_write2st64_b64 v66, v[10:11], v[14:15] offset0:16 offset1:24
	ds_write_b64 v122, v[12:13]
	ds_write2st64_b64 v66, v[6:7], v[8:9] offset0:32 offset1:48
	v_pk_add_f32 v[6:7], v[18:19], v[16:17]
	s_nop 0
	v_pk_fma_f32 v[2:3], v[6:7], 0.5, v[2:3] op_sel_hi:[1,0,1] neg_lo:[1,0,0] neg_hi:[1,0,0]
	v_pk_add_f32 v[6:7], v[18:19], v[16:17] neg_lo:[0,1] neg_hi:[0,1]
	s_nop 0
	v_pk_mul_f32 v[6:7], v[6:7], s[0:1] op_sel_hi:[1,0]
	s_nop 0
	v_pk_add_f32 v[8:9], v[2:3], v[6:7] op_sel:[0,1] op_sel_hi:[1,0]
	v_pk_add_f32 v[2:3], v[2:3], v[6:7] op_sel:[0,1] op_sel_hi:[1,0] neg_lo:[0,1] neg_hi:[0,1]
	v_mov_b32_e32 v7, v9
	v_mov_b32_e32 v6, v2
	;; [unrolled: 1-line block ×3, first 2 shown]
	v_pk_add_f32 v[2:3], v[4:5], v[40:41]
	ds_write_b64 v1, v[6:7]
	v_pk_add_f32 v[2:3], v[2:3], v[42:43]
	ds_write2st64_b64 v66, v[8:9], v[2:3] offset0:64 offset1:72
	v_mov_b32_e32 v2, v46
	v_mov_b32_e32 v3, v45
	;; [unrolled: 1-line block ×3, first 2 shown]
	ds_write_b64 v66, v[2:3] offset:40960
	ds_write_b64 v69, v[44:45]
	s_waitcnt lgkmcnt(0)
	s_barrier
	ds_read2st64_b64 v[2:5], v66 offset0:16 offset1:24
	ds_read2st64_b64 v[6:9], v66 offset1:8
	ds_read2st64_b64 v[10:13], v66 offset0:32 offset1:48
	ds_read2st64_b64 v[14:17], v66 offset0:64 offset1:72
	s_waitcnt lgkmcnt(3)
	v_pk_mul_f32 v[18:19], v[22:23], v[4:5] op_sel:[1,0]
	s_nop 0
	v_pk_fma_f32 v[20:21], v[22:23], v[4:5], v[18:19] op_sel:[0,0,1] op_sel_hi:[1,1,0]
	v_pk_fma_f32 v[4:5], v[22:23], v[4:5], v[18:19] op_sel:[0,0,1] op_sel_hi:[0,1,0] neg_lo:[0,0,1] neg_hi:[0,0,1]
	v_mov_b32_e32 v21, v5
	s_waitcnt lgkmcnt(1)
	v_pk_mul_f32 v[4:5], v[24:25], v[12:13] op_sel:[1,0]
	v_pk_mul_f32 v[34:35], v[26:27], v[10:11] op_sel:[1,0]
	v_pk_fma_f32 v[18:19], v[24:25], v[12:13], v[4:5] op_sel:[0,0,1] op_sel_hi:[1,1,0]
	v_pk_fma_f32 v[4:5], v[24:25], v[12:13], v[4:5] op_sel:[0,0,1] op_sel_hi:[0,1,0] neg_lo:[0,0,1] neg_hi:[0,0,1]
	v_mov_b32_e32 v19, v5
	s_waitcnt lgkmcnt(0)
	v_pk_mul_f32 v[4:5], v[76:77], v[16:17] op_sel:[1,0]
	v_pk_fma_f32 v[36:37], v[26:27], v[10:11], v[34:35] op_sel:[0,0,1] op_sel_hi:[1,1,0]
	v_pk_fma_f32 v[12:13], v[76:77], v[16:17], v[4:5] op_sel:[0,0,1] op_sel_hi:[1,1,0]
	v_pk_fma_f32 v[4:5], v[76:77], v[16:17], v[4:5] op_sel:[0,0,1] op_sel_hi:[0,1,0] neg_lo:[0,0,1] neg_hi:[0,0,1]
	v_mov_b32_e32 v13, v5
	v_pk_add_f32 v[4:5], v[6:7], v[18:19] neg_lo:[0,1] neg_hi:[0,1]
	v_pk_add_f32 v[12:13], v[20:21], v[12:13] neg_lo:[0,1] neg_hi:[0,1]
	v_pk_fma_f32 v[10:11], v[26:27], v[10:11], v[34:35] op_sel:[0,0,1] op_sel_hi:[0,1,0] neg_lo:[0,0,1] neg_hi:[0,0,1]
	v_pk_fma_f32 v[16:17], v[20:21], 2.0, v[12:13] op_sel_hi:[1,0,1] neg_lo:[0,0,1] neg_hi:[0,0,1]
	v_pk_add_f32 v[18:19], v[4:5], v[12:13] op_sel:[0,1] op_sel_hi:[1,0]
	v_pk_add_f32 v[12:13], v[4:5], v[12:13] op_sel:[0,1] op_sel_hi:[1,0] neg_lo:[0,1] neg_hi:[0,1]
	v_mov_b32_e32 v37, v11
	v_mov_b32_e32 v19, v13
	ds_read_b64 v[12:13], v69
	ds_read_b64 v[20:21], v66 offset:40960
	ds_read_b64 v[22:23], v122
	ds_read_b64 v[24:25], v1
	v_pk_fma_f32 v[6:7], v[6:7], 2.0, v[4:5] op_sel_hi:[1,0,1] neg_lo:[0,0,1] neg_hi:[0,0,1]
	v_pk_fma_f32 v[4:5], v[4:5], 2.0, v[18:19] op_sel_hi:[1,0,1] neg_lo:[0,0,1] neg_hi:[0,0,1]
	v_pk_add_f32 v[16:17], v[6:7], v[16:17] neg_lo:[0,1] neg_hi:[0,1]
	s_waitcnt lgkmcnt(0)
	v_pk_mul_f32 v[10:11], v[28:29], v[24:25] op_sel:[1,0]
	s_nop 0
	v_pk_fma_f32 v[26:27], v[28:29], v[24:25], v[10:11] op_sel:[0,0,1] op_sel_hi:[1,1,0]
	v_pk_fma_f32 v[10:11], v[28:29], v[24:25], v[10:11] op_sel:[0,0,1] op_sel_hi:[0,1,0] neg_lo:[0,0,1] neg_hi:[0,0,1]
	v_mov_b32_e32 v27, v11
	v_pk_mul_f32 v[10:11], v[78:79], v[20:21] op_sel:[1,0]
	v_pk_fma_f32 v[6:7], v[6:7], 2.0, v[16:17] op_sel_hi:[1,0,1] neg_lo:[0,0,1] neg_hi:[0,0,1]
	v_pk_fma_f32 v[24:25], v[78:79], v[20:21], v[10:11] op_sel:[0,0,1] op_sel_hi:[1,1,0]
	v_pk_fma_f32 v[10:11], v[78:79], v[20:21], v[10:11] op_sel:[0,0,1] op_sel_hi:[0,1,0] neg_lo:[0,0,1] neg_hi:[0,0,1]
	v_mov_b32_e32 v25, v11
	v_pk_add_f32 v[10:11], v[8:9], v[26:27] neg_lo:[0,1] neg_hi:[0,1]
	v_pk_add_f32 v[20:21], v[36:37], v[24:25] neg_lo:[0,1] neg_hi:[0,1]
	v_pk_fma_f32 v[8:9], v[8:9], 2.0, v[10:11] op_sel_hi:[1,0,1] neg_lo:[0,0,1] neg_hi:[0,0,1]
	v_pk_fma_f32 v[24:25], v[36:37], 2.0, v[20:21] op_sel_hi:[1,0,1] neg_lo:[0,0,1] neg_hi:[0,0,1]
	s_nop 0
	v_pk_add_f32 v[24:25], v[8:9], v[24:25] neg_lo:[0,1] neg_hi:[0,1]
	s_nop 0
	v_pk_fma_f32 v[8:9], v[8:9], 2.0, v[24:25] op_sel_hi:[1,0,1] neg_lo:[0,0,1] neg_hi:[0,0,1]
	ds_write2st64_b64 v66, v[6:7], v[8:9] offset1:8
	v_pk_add_f32 v[6:7], v[10:11], v[20:21] op_sel:[0,1] op_sel_hi:[1,0]
	v_pk_add_f32 v[8:9], v[10:11], v[20:21] op_sel:[0,1] op_sel_hi:[1,0] neg_lo:[0,1] neg_hi:[0,1]
	s_nop 0
	v_mov_b32_e32 v7, v9
	v_pk_fma_f32 v[8:9], v[10:11], 2.0, v[6:7] op_sel_hi:[1,0,1] neg_lo:[0,0,1] neg_hi:[0,0,1]
	ds_write2st64_b64 v66, v[8:9], v[16:17] offset0:32 offset1:48
	ds_write_b64 v1, v[24:25]
	ds_write_b64 v66, v[6:7] offset:40960
	v_mov_b32_e32 v6, v23
	v_pk_mul_f32 v[8:9], v[30:31], v[22:23] op_sel_hi:[1,0]
	s_nop 0
	v_pk_fma_f32 v[6:7], v[30:31], v[6:7], v[8:9] op_sel:[0,0,1] op_sel_hi:[1,1,0] neg_lo:[0,0,1] neg_hi:[0,0,1]
	v_pk_fma_f32 v[8:9], v[30:31], v[22:23], v[8:9] op_sel:[0,1,1] op_sel_hi:[1,1,0]
	s_nop 0
	v_mov_b32_e32 v7, v9
	v_pk_mul_f32 v[8:9], v[32:33], v[14:15] op_sel:[1,0]
	s_nop 0
	v_pk_fma_f32 v[10:11], v[32:33], v[14:15], v[8:9] op_sel:[0,0,1] op_sel_hi:[1,1,0]
	v_pk_fma_f32 v[8:9], v[32:33], v[14:15], v[8:9] op_sel:[0,0,1] op_sel_hi:[0,1,0] neg_lo:[0,0,1] neg_hi:[0,0,1]
	v_mov_b32_e32 v8, v13
	v_pk_mul_f32 v[14:15], v[80:81], v[12:13] op_sel_hi:[1,0]
	v_mov_b32_e32 v11, v9
	v_pk_fma_f32 v[8:9], v[80:81], v[8:9], v[14:15] op_sel:[0,0,1] op_sel_hi:[1,1,0] neg_lo:[0,0,1] neg_hi:[0,0,1]
	v_pk_fma_f32 v[12:13], v[80:81], v[12:13], v[14:15] op_sel:[0,1,1] op_sel_hi:[1,1,0]
	v_pk_add_f32 v[10:11], v[2:3], v[10:11] neg_lo:[0,1] neg_hi:[0,1]
	v_mov_b32_e32 v9, v13
	v_pk_add_f32 v[8:9], v[6:7], v[8:9] neg_lo:[0,1] neg_hi:[0,1]
	v_pk_fma_f32 v[2:3], v[2:3], 2.0, v[10:11] op_sel_hi:[1,0,1] neg_lo:[0,0,1] neg_hi:[0,0,1]
	v_pk_fma_f32 v[6:7], v[6:7], 2.0, v[8:9] op_sel_hi:[1,0,1] neg_lo:[0,0,1] neg_hi:[0,0,1]
	v_pk_add_f32 v[12:13], v[10:11], v[8:9]
	v_pk_add_f32 v[14:15], v[10:11], v[8:9] neg_lo:[0,1] neg_hi:[0,1]
	v_pk_add_f32 v[6:7], v[2:3], v[6:7] op_sel:[0,1] op_sel_hi:[1,0] neg_lo:[0,1] neg_hi:[0,1]
	v_mov_b32_e32 v13, v15
	v_pk_fma_f32 v[2:3], v[2:3], 2.0, v[6:7] op_sel_hi:[1,0,1] neg_lo:[0,0,1] neg_hi:[0,0,1]
	ds_write2st64_b64 v66, v[2:3], v[4:5] offset0:16 offset1:24
	v_pk_fma_f32 v[2:3], v[10:11], 2.0, v[12:13] op_sel_hi:[1,0,1] neg_lo:[0,0,1] neg_hi:[0,0,1]
	ds_write_b64 v122, v[2:3]
	ds_write2st64_b64 v66, v[6:7], v[18:19] offset0:64 offset1:72
	ds_write_b64 v69, v[12:13]
	s_waitcnt lgkmcnt(0)
	s_barrier
	s_and_b64 exec, exec, s[8:9]
	s_cbranch_execz .LBB0_29
; %bb.28:
	v_mov_b32_e32 v67, 0
	global_load_dwordx2 v[12:13], v66, s[16:17]
	global_load_dwordx2 v[14:15], v66, s[16:17] offset:3072
	s_movk_i32 s0, 0x1000
	v_lshl_add_u64 v[2:3], s[16:17], 0, v[66:67]
	v_add_co_u32_e32 v4, vcc, s0, v2
	s_movk_i32 s0, 0x2000
	s_nop 0
	v_addc_co_u32_e32 v5, vcc, 0, v3, vcc
	global_load_dwordx2 v[16:17], v[4:5], off offset:2048
	v_add_co_u32_e32 v4, vcc, s0, v2
	ds_read2st64_b64 v[8:11], v66 offset0:12 offset1:18
	s_nop 0
	v_addc_co_u32_e32 v5, vcc, 0, v3, vcc
	global_load_dwordx2 v[20:21], v[4:5], off offset:1024
	ds_read2st64_b64 v[4:7], v66 offset1:6
	global_load_dwordx2 v[26:27], v128, s[16:17]
	global_load_dwordx2 v[28:29], v129, s[16:17]
	v_mad_u64_u32 v[24:25], s[2:3], s12, v0, 0
	s_movk_i32 s3, 0x3000
	v_mov_b32_e32 v32, v25
	v_mad_u64_u32 v[22:23], s[0:1], s14, v68, 0
	v_mad_u64_u32 v[0:1], s[4:5], s13, v0, v[32:33]
	v_add_co_u32_e32 v32, vcc, s3, v2
	s_movk_i32 s6, 0x4000
	v_mov_b32_e32 v30, v23
	v_addc_co_u32_e32 v33, vcc, 0, v3, vcc
	v_mad_u64_u32 v[30:31], s[4:5], s15, v68, v[30:31]
	v_add_co_u32_e32 v34, vcc, s6, v2
	v_mov_b32_e32 v23, v30
	s_nop 0
	v_addc_co_u32_e32 v35, vcc, 0, v3, vcc
	v_mov_b32_e32 v25, v0
	global_load_dwordx2 v[0:1], v[32:33], off offset:3072
	global_load_dwordx2 v[30:31], v[34:35], off offset:2048
	v_mov_b32_e32 v18, s18
	v_mov_b32_e32 v19, s19
	v_lshl_add_u64 v[18:19], v[22:23], 3, v[18:19]
	v_lshl_add_u64 v[18:19], v[24:25], 3, v[18:19]
	s_mov_b32 s0, 0x55555555
	s_mov_b32 s1, 0x3f255555
	v_mov_b32_e32 v36, 0xc00
	s_mul_i32 s2, s13, 0xc00
	v_mad_u64_u32 v[22:23], s[4:5], s12, v36, v[18:19]
	v_add_u32_e32 v23, s2, v23
	s_movk_i32 s7, 0x5000
	s_movk_i32 s3, 0x6000
	s_waitcnt vmcnt(7) lgkmcnt(0)
	v_mul_f32_e32 v24, v5, v13
	v_mul_f32_e32 v13, v4, v13
	s_waitcnt vmcnt(6)
	v_mul_f32_e32 v25, v7, v15
	v_mul_f32_e32 v15, v6, v15
	v_fmac_f32_e32 v24, v4, v12
	v_fma_f32 v12, v12, v5, -v13
	v_fmac_f32_e32 v25, v6, v14
	v_fma_f32 v14, v14, v7, -v15
	v_cvt_f64_f32_e32 v[4:5], v24
	v_cvt_f64_f32_e32 v[6:7], v12
	;; [unrolled: 1-line block ×4, first 2 shown]
	v_mul_f64 v[4:5], v[4:5], s[0:1]
	v_mul_f64 v[6:7], v[6:7], s[0:1]
	;; [unrolled: 1-line block ×4, first 2 shown]
	s_waitcnt vmcnt(5)
	v_mul_f32_e32 v24, v9, v17
	v_mul_f32_e32 v17, v8, v17
	v_cvt_f32_f64_e32 v4, v[4:5]
	v_cvt_f32_f64_e32 v5, v[6:7]
	;; [unrolled: 1-line block ×4, first 2 shown]
	v_fmac_f32_e32 v24, v8, v16
	v_fma_f32 v8, v16, v9, -v17
	global_store_dwordx2 v[18:19], v[4:5], off
	global_store_dwordx2 v[22:23], v[6:7], off
	v_cvt_f64_f32_e32 v[4:5], v24
	v_cvt_f64_f32_e32 v[6:7], v8
	v_mul_f64 v[4:5], v[4:5], s[0:1]
	v_mul_f64 v[6:7], v[6:7], s[0:1]
	v_cvt_f32_f64_e32 v4, v[4:5]
	v_cvt_f32_f64_e32 v5, v[6:7]
	v_add_co_u32_e32 v6, vcc, s7, v2
	v_mad_u64_u32 v[12:13], s[4:5], s12, v36, v[22:23]
	s_nop 0
	v_addc_co_u32_e32 v7, vcc, 0, v3, vcc
	global_load_dwordx2 v[8:9], v[6:7], off offset:1024
	v_add_u32_e32 v13, s2, v13
	global_store_dwordx2 v[12:13], v[4:5], off
	s_waitcnt vmcnt(8)
	v_mul_f32_e32 v4, v11, v21
	v_fmac_f32_e32 v4, v10, v20
	v_cvt_f64_f32_e32 v[4:5], v4
	v_mul_f64 v[4:5], v[4:5], s[0:1]
	v_cvt_f32_f64_e32 v14, v[4:5]
	v_mul_f32_e32 v4, v10, v21
	v_fma_f32 v4, v20, v11, -v4
	v_cvt_f64_f32_e32 v[4:5], v4
	v_mul_f64 v[4:5], v[4:5], s[0:1]
	v_mad_u64_u32 v[10:11], s[4:5], s12, v36, v[12:13]
	v_cvt_f32_f64_e32 v15, v[4:5]
	v_add_u32_e32 v11, s2, v11
	global_store_dwordx2 v[10:11], v[14:15], off
	v_add_co_u32_e32 v14, vcc, s3, v2
	ds_read2st64_b64 v[4:7], v66 offset0:24 offset1:30
	s_nop 0
	v_addc_co_u32_e32 v15, vcc, 0, v3, vcc
	global_load_dwordx2 v[14:15], v[14:15], off offset:3072
	s_movk_i32 s3, 0x7000
	s_waitcnt vmcnt(9) lgkmcnt(0)
	v_mul_f32_e32 v12, v5, v27
	v_fmac_f32_e32 v12, v4, v26
	v_mul_f32_e32 v4, v4, v27
	v_fma_f32 v4, v26, v5, -v4
	v_cvt_f64_f32_e32 v[12:13], v12
	v_cvt_f64_f32_e32 v[4:5], v4
	v_mul_f64 v[12:13], v[12:13], s[0:1]
	v_mul_f64 v[4:5], v[4:5], s[0:1]
	v_cvt_f32_f64_e32 v12, v[12:13]
	v_cvt_f32_f64_e32 v13, v[4:5]
	v_mad_u64_u32 v[10:11], s[4:5], s12, v36, v[10:11]
	v_add_co_u32_e32 v4, vcc, s3, v2
	v_add_u32_e32 v11, s2, v11
	s_nop 0
	v_addc_co_u32_e32 v5, vcc, 0, v3, vcc
	global_store_dwordx2 v[10:11], v[12:13], off
	global_load_dwordx2 v[12:13], v[4:5], off offset:2048
	s_waitcnt vmcnt(9)
	v_mul_f32_e32 v4, v7, v1
	v_fmac_f32_e32 v4, v6, v0
	v_cvt_f64_f32_e32 v[4:5], v4
	v_mul_f64 v[4:5], v[4:5], s[0:1]
	s_mov_b32 s3, 0x8000
	v_cvt_f32_f64_e32 v16, v[4:5]
	v_add_co_u32_e32 v4, vcc, s3, v2
	v_mul_f32_e32 v1, v6, v1
	s_nop 0
	v_addc_co_u32_e32 v5, vcc, 0, v3, vcc
	global_load_dwordx2 v[18:19], v[4:5], off offset:1024
	v_fma_f32 v0, v0, v7, -v1
	ds_read2st64_b64 v[4:7], v66 offset0:36 offset1:42
	v_cvt_f64_f32_e32 v[0:1], v0
	v_mul_f64 v[0:1], v[0:1], s[0:1]
	v_cvt_f32_f64_e32 v17, v[0:1]
	v_mad_u64_u32 v[0:1], s[4:5], s12, v36, v[10:11]
	s_waitcnt vmcnt(9) lgkmcnt(0)
	v_mul_f32_e32 v10, v5, v31
	v_fmac_f32_e32 v10, v4, v30
	v_mul_f32_e32 v4, v4, v31
	v_fma_f32 v4, v30, v5, -v4
	v_cvt_f64_f32_e32 v[10:11], v10
	v_cvt_f64_f32_e32 v[4:5], v4
	v_mul_f64 v[10:11], v[10:11], s[0:1]
	v_mul_f64 v[4:5], v[4:5], s[0:1]
	v_cvt_f32_f64_e32 v10, v[10:11]
	v_cvt_f32_f64_e32 v11, v[4:5]
	v_add_u32_e32 v1, s2, v1
	global_store_dwordx2 v[0:1], v[16:17], off
	v_mad_u64_u32 v[0:1], s[4:5], s12, v36, v[0:1]
	v_add_u32_e32 v1, s2, v1
	global_store_dwordx2 v[0:1], v[10:11], off
	v_mad_u64_u32 v[0:1], s[4:5], s12, v36, v[0:1]
	s_waitcnt vmcnt(8)
	v_mul_f32_e32 v4, v7, v9
	v_fmac_f32_e32 v4, v6, v8
	v_cvt_f64_f32_e32 v[4:5], v4
	v_mul_f64 v[4:5], v[4:5], s[0:1]
	v_cvt_f32_f64_e32 v10, v[4:5]
	v_mul_f32_e32 v4, v6, v9
	v_fma_f32 v4, v8, v7, -v4
	v_cvt_f64_f32_e32 v[4:5], v4
	v_mul_f64 v[4:5], v[4:5], s[0:1]
	v_cvt_f32_f64_e32 v11, v[4:5]
	ds_read2st64_b64 v[4:7], v66 offset0:48 offset1:54
	v_add_u32_e32 v1, s2, v1
	global_store_dwordx2 v[0:1], v[10:11], off
	v_mad_u64_u32 v[0:1], s[4:5], s12, v36, v[0:1]
	s_waitcnt lgkmcnt(0)
	v_mul_f32_e32 v8, v5, v29
	v_fmac_f32_e32 v8, v4, v28
	v_mul_f32_e32 v4, v4, v29
	v_fma_f32 v4, v28, v5, -v4
	v_cvt_f64_f32_e32 v[8:9], v8
	v_cvt_f64_f32_e32 v[4:5], v4
	v_mul_f64 v[8:9], v[8:9], s[0:1]
	v_mul_f64 v[4:5], v[4:5], s[0:1]
	v_cvt_f32_f64_e32 v8, v[8:9]
	v_cvt_f32_f64_e32 v9, v[4:5]
	s_waitcnt vmcnt(6)
	v_mul_f32_e32 v4, v7, v15
	v_fmac_f32_e32 v4, v6, v14
	v_cvt_f64_f32_e32 v[4:5], v4
	v_add_u32_e32 v1, s2, v1
	v_mul_f64 v[4:5], v[4:5], s[0:1]
	global_store_dwordx2 v[0:1], v[8:9], off
	v_cvt_f32_f64_e32 v8, v[4:5]
	v_mul_f32_e32 v4, v6, v15
	v_fma_f32 v4, v14, v7, -v4
	v_cvt_f64_f32_e32 v[4:5], v4
	v_mul_f64 v[4:5], v[4:5], s[0:1]
	v_cvt_f32_f64_e32 v9, v[4:5]
	ds_read2st64_b64 v[4:7], v66 offset0:60 offset1:66
	v_mad_u64_u32 v[0:1], s[4:5], s12, v36, v[0:1]
	v_add_u32_e32 v1, s2, v1
	global_store_dwordx2 v[0:1], v[8:9], off
	s_waitcnt vmcnt(6) lgkmcnt(0)
	v_mul_f32_e32 v8, v5, v13
	v_fmac_f32_e32 v8, v4, v12
	v_mul_f32_e32 v4, v4, v13
	v_fma_f32 v4, v12, v5, -v4
	v_cvt_f64_f32_e32 v[8:9], v8
	v_cvt_f64_f32_e32 v[4:5], v4
	v_mul_f64 v[8:9], v[8:9], s[0:1]
	v_mul_f64 v[4:5], v[4:5], s[0:1]
	v_cvt_f32_f64_e32 v8, v[8:9]
	v_cvt_f32_f64_e32 v9, v[4:5]
	v_mad_u64_u32 v[0:1], s[4:5], s12, v36, v[0:1]
	s_waitcnt vmcnt(5)
	v_mul_f32_e32 v4, v7, v19
	v_fmac_f32_e32 v4, v6, v18
	v_cvt_f64_f32_e32 v[4:5], v4
	v_mul_f64 v[4:5], v[4:5], s[0:1]
	v_cvt_f32_f64_e32 v4, v[4:5]
	v_mul_f32_e32 v5, v6, v19
	v_fma_f32 v5, v18, v7, -v5
	v_add_u32_e32 v1, s2, v1
	v_cvt_f64_f32_e32 v[6:7], v5
	global_store_dwordx2 v[0:1], v[8:9], off
	v_mul_f64 v[6:7], v[6:7], s[0:1]
	v_mad_u64_u32 v[0:1], s[4:5], s12, v36, v[0:1]
	v_cvt_f32_f64_e32 v5, v[6:7]
	v_add_u32_e32 v1, s2, v1
	global_store_dwordx2 v[0:1], v[4:5], off
	global_load_dwordx2 v[8:9], v124, s[16:17]
	ds_read2st64_b64 v[4:7], v66 offset0:72 offset1:78
	v_mad_u64_u32 v[0:1], s[4:5], s12, v36, v[0:1]
	s_mov_b32 s3, 0x9000
	v_add_u32_e32 v1, s2, v1
	s_waitcnt vmcnt(0) lgkmcnt(0)
	v_mul_f32_e32 v10, v5, v9
	v_fmac_f32_e32 v10, v4, v8
	v_mul_f32_e32 v4, v4, v9
	v_fma_f32 v4, v8, v5, -v4
	v_cvt_f64_f32_e32 v[10:11], v10
	v_cvt_f64_f32_e32 v[4:5], v4
	v_mul_f64 v[10:11], v[10:11], s[0:1]
	v_mul_f64 v[4:5], v[4:5], s[0:1]
	v_cvt_f32_f64_e32 v10, v[10:11]
	v_cvt_f32_f64_e32 v11, v[4:5]
	v_add_co_u32_e32 v4, vcc, s3, v2
	global_store_dwordx2 v[0:1], v[10:11], off
	s_nop 0
	v_addc_co_u32_e32 v5, vcc, 0, v3, vcc
	global_load_dwordx2 v[4:5], v[4:5], off offset:3072
	v_mad_u64_u32 v[0:1], s[4:5], s12, v36, v[0:1]
	s_mov_b32 s3, 0xa000
	v_add_u32_e32 v1, s2, v1
	s_waitcnt vmcnt(0)
	v_mul_f32_e32 v8, v7, v5
	v_mul_f32_e32 v5, v6, v5
	v_fmac_f32_e32 v8, v6, v4
	v_fma_f32 v4, v4, v7, -v5
	v_cvt_f64_f32_e32 v[8:9], v8
	v_cvt_f64_f32_e32 v[4:5], v4
	v_mul_f64 v[8:9], v[8:9], s[0:1]
	v_mul_f64 v[4:5], v[4:5], s[0:1]
	v_cvt_f32_f64_e32 v8, v[8:9]
	v_cvt_f32_f64_e32 v9, v[4:5]
	v_add_co_u32_e32 v4, vcc, s3, v2
	global_store_dwordx2 v[0:1], v[8:9], off
	s_nop 0
	v_addc_co_u32_e32 v5, vcc, 0, v3, vcc
	global_load_dwordx2 v[8:9], v[4:5], off offset:2048
	ds_read2st64_b64 v[4:7], v66 offset0:84 offset1:90
	s_mov_b32 s3, 0xb000
	v_mad_u64_u32 v[0:1], s[4:5], s12, v36, v[0:1]
	v_add_co_u32_e32 v2, vcc, s3, v2
	v_add_u32_e32 v1, s2, v1
	s_nop 0
	v_addc_co_u32_e32 v3, vcc, 0, v3, vcc
	s_waitcnt vmcnt(0) lgkmcnt(0)
	v_mul_f32_e32 v10, v5, v9
	v_mul_f32_e32 v9, v4, v9
	v_fmac_f32_e32 v10, v4, v8
	v_fma_f32 v8, v8, v5, -v9
	v_cvt_f64_f32_e32 v[4:5], v10
	v_cvt_f64_f32_e32 v[8:9], v8
	v_mul_f64 v[4:5], v[4:5], s[0:1]
	v_mul_f64 v[8:9], v[8:9], s[0:1]
	v_cvt_f32_f64_e32 v4, v[4:5]
	v_cvt_f32_f64_e32 v5, v[8:9]
	global_store_dwordx2 v[0:1], v[4:5], off
	global_load_dwordx2 v[2:3], v[2:3], off offset:1024
	v_mad_u64_u32 v[0:1], s[4:5], s12, v36, v[0:1]
	v_add_u32_e32 v1, s2, v1
	s_waitcnt vmcnt(0)
	v_mul_f32_e32 v4, v7, v3
	v_mul_f32_e32 v3, v6, v3
	v_fmac_f32_e32 v4, v6, v2
	v_fma_f32 v5, v2, v7, -v3
	v_cvt_f64_f32_e32 v[2:3], v4
	v_cvt_f64_f32_e32 v[4:5], v5
	v_mul_f64 v[2:3], v[2:3], s[0:1]
	v_mul_f64 v[4:5], v[4:5], s[0:1]
	v_cvt_f32_f64_e32 v2, v[2:3]
	v_cvt_f32_f64_e32 v3, v[4:5]
	global_store_dwordx2 v[0:1], v[2:3], off
.LBB0_29:
	s_endpgm
	.section	.rodata,"a",@progbits
	.p2align	6, 0x0
	.amdhsa_kernel bluestein_single_fwd_len6144_dim1_sp_op_CI_CI
		.amdhsa_group_segment_fixed_size 49152
		.amdhsa_private_segment_fixed_size 0
		.amdhsa_kernarg_size 104
		.amdhsa_user_sgpr_count 2
		.amdhsa_user_sgpr_dispatch_ptr 0
		.amdhsa_user_sgpr_queue_ptr 0
		.amdhsa_user_sgpr_kernarg_segment_ptr 1
		.amdhsa_user_sgpr_dispatch_id 0
		.amdhsa_user_sgpr_kernarg_preload_length 0
		.amdhsa_user_sgpr_kernarg_preload_offset 0
		.amdhsa_user_sgpr_private_segment_size 0
		.amdhsa_uses_dynamic_stack 0
		.amdhsa_enable_private_segment 0
		.amdhsa_system_sgpr_workgroup_id_x 1
		.amdhsa_system_sgpr_workgroup_id_y 0
		.amdhsa_system_sgpr_workgroup_id_z 0
		.amdhsa_system_sgpr_workgroup_info 0
		.amdhsa_system_vgpr_workitem_id 0
		.amdhsa_next_free_vgpr 131
		.amdhsa_next_free_sgpr 24
		.amdhsa_accum_offset 132
		.amdhsa_reserve_vcc 1
		.amdhsa_float_round_mode_32 0
		.amdhsa_float_round_mode_16_64 0
		.amdhsa_float_denorm_mode_32 3
		.amdhsa_float_denorm_mode_16_64 3
		.amdhsa_dx10_clamp 1
		.amdhsa_ieee_mode 1
		.amdhsa_fp16_overflow 0
		.amdhsa_tg_split 0
		.amdhsa_exception_fp_ieee_invalid_op 0
		.amdhsa_exception_fp_denorm_src 0
		.amdhsa_exception_fp_ieee_div_zero 0
		.amdhsa_exception_fp_ieee_overflow 0
		.amdhsa_exception_fp_ieee_underflow 0
		.amdhsa_exception_fp_ieee_inexact 0
		.amdhsa_exception_int_div_zero 0
	.end_amdhsa_kernel
	.text
.Lfunc_end0:
	.size	bluestein_single_fwd_len6144_dim1_sp_op_CI_CI, .Lfunc_end0-bluestein_single_fwd_len6144_dim1_sp_op_CI_CI
                                        ; -- End function
	.section	.AMDGPU.csdata,"",@progbits
; Kernel info:
; codeLenInByte = 15100
; NumSgprs: 30
; NumVgprs: 131
; NumAgprs: 0
; TotalNumVgprs: 131
; ScratchSize: 0
; MemoryBound: 0
; FloatMode: 240
; IeeeMode: 1
; LDSByteSize: 49152 bytes/workgroup (compile time only)
; SGPRBlocks: 3
; VGPRBlocks: 16
; NumSGPRsForWavesPerEU: 30
; NumVGPRsForWavesPerEU: 131
; AccumOffset: 132
; Occupancy: 3
; WaveLimiterHint : 1
; COMPUTE_PGM_RSRC2:SCRATCH_EN: 0
; COMPUTE_PGM_RSRC2:USER_SGPR: 2
; COMPUTE_PGM_RSRC2:TRAP_HANDLER: 0
; COMPUTE_PGM_RSRC2:TGID_X_EN: 1
; COMPUTE_PGM_RSRC2:TGID_Y_EN: 0
; COMPUTE_PGM_RSRC2:TGID_Z_EN: 0
; COMPUTE_PGM_RSRC2:TIDIG_COMP_CNT: 0
; COMPUTE_PGM_RSRC3_GFX90A:ACCUM_OFFSET: 32
; COMPUTE_PGM_RSRC3_GFX90A:TG_SPLIT: 0
	.text
	.p2alignl 6, 3212836864
	.fill 256, 4, 3212836864
	.type	__hip_cuid_5ee6922376da3276,@object ; @__hip_cuid_5ee6922376da3276
	.section	.bss,"aw",@nobits
	.globl	__hip_cuid_5ee6922376da3276
__hip_cuid_5ee6922376da3276:
	.byte	0                               ; 0x0
	.size	__hip_cuid_5ee6922376da3276, 1

	.ident	"AMD clang version 19.0.0git (https://github.com/RadeonOpenCompute/llvm-project roc-6.4.0 25133 c7fe45cf4b819c5991fe208aaa96edf142730f1d)"
	.section	".note.GNU-stack","",@progbits
	.addrsig
	.addrsig_sym __hip_cuid_5ee6922376da3276
	.amdgpu_metadata
---
amdhsa.kernels:
  - .agpr_count:     0
    .args:
      - .actual_access:  read_only
        .address_space:  global
        .offset:         0
        .size:           8
        .value_kind:     global_buffer
      - .actual_access:  read_only
        .address_space:  global
        .offset:         8
        .size:           8
        .value_kind:     global_buffer
      - .actual_access:  read_only
        .address_space:  global
        .offset:         16
        .size:           8
        .value_kind:     global_buffer
      - .actual_access:  read_only
        .address_space:  global
        .offset:         24
        .size:           8
        .value_kind:     global_buffer
      - .actual_access:  read_only
        .address_space:  global
        .offset:         32
        .size:           8
        .value_kind:     global_buffer
      - .offset:         40
        .size:           8
        .value_kind:     by_value
      - .address_space:  global
        .offset:         48
        .size:           8
        .value_kind:     global_buffer
      - .address_space:  global
        .offset:         56
        .size:           8
        .value_kind:     global_buffer
      - .address_space:  global
        .offset:         64
        .size:           8
        .value_kind:     global_buffer
      - .address_space:  global
        .offset:         72
        .size:           8
        .value_kind:     global_buffer
      - .offset:         80
        .size:           4
        .value_kind:     by_value
      - .address_space:  global
        .offset:         88
        .size:           8
        .value_kind:     global_buffer
      - .address_space:  global
        .offset:         96
        .size:           8
        .value_kind:     global_buffer
    .group_segment_fixed_size: 49152
    .kernarg_segment_align: 8
    .kernarg_segment_size: 104
    .language:       OpenCL C
    .language_version:
      - 2
      - 0
    .max_flat_workgroup_size: 512
    .name:           bluestein_single_fwd_len6144_dim1_sp_op_CI_CI
    .private_segment_fixed_size: 0
    .sgpr_count:     30
    .sgpr_spill_count: 0
    .symbol:         bluestein_single_fwd_len6144_dim1_sp_op_CI_CI.kd
    .uniform_work_group_size: 1
    .uses_dynamic_stack: false
    .vgpr_count:     131
    .vgpr_spill_count: 0
    .wavefront_size: 64
amdhsa.target:   amdgcn-amd-amdhsa--gfx950
amdhsa.version:
  - 1
  - 2
...

	.end_amdgpu_metadata
